;; amdgpu-corpus repo=ROCm/rocFFT kind=compiled arch=gfx906 opt=O3
	.text
	.amdgcn_target "amdgcn-amd-amdhsa--gfx906"
	.amdhsa_code_object_version 6
	.protected	fft_rtc_back_len1575_factors_3_3_5_7_5_wgs_63_tpt_63_halfLds_half_ip_CI_unitstride_sbrr_dirReg ; -- Begin function fft_rtc_back_len1575_factors_3_3_5_7_5_wgs_63_tpt_63_halfLds_half_ip_CI_unitstride_sbrr_dirReg
	.globl	fft_rtc_back_len1575_factors_3_3_5_7_5_wgs_63_tpt_63_halfLds_half_ip_CI_unitstride_sbrr_dirReg
	.p2align	8
	.type	fft_rtc_back_len1575_factors_3_3_5_7_5_wgs_63_tpt_63_halfLds_half_ip_CI_unitstride_sbrr_dirReg,@function
fft_rtc_back_len1575_factors_3_3_5_7_5_wgs_63_tpt_63_halfLds_half_ip_CI_unitstride_sbrr_dirReg: ; @fft_rtc_back_len1575_factors_3_3_5_7_5_wgs_63_tpt_63_halfLds_half_ip_CI_unitstride_sbrr_dirReg
; %bb.0:
	s_load_dwordx2 s[12:13], s[4:5], 0x50
	s_load_dwordx4 s[8:11], s[4:5], 0x0
	s_load_dwordx2 s[2:3], s[4:5], 0x18
	v_mul_u32_u24_e32 v1, 0x411, v0
	v_add_u32_sdwa v5, s6, v1 dst_sel:DWORD dst_unused:UNUSED_PAD src0_sel:DWORD src1_sel:WORD_1
	v_mov_b32_e32 v3, 0
	s_waitcnt lgkmcnt(0)
	v_cmp_lt_u64_e64 s[0:1], s[10:11], 2
	v_mov_b32_e32 v1, 0
	v_mov_b32_e32 v6, v3
	s_and_b64 vcc, exec, s[0:1]
	v_mov_b32_e32 v2, 0
	s_cbranch_vccnz .LBB0_8
; %bb.1:
	s_load_dwordx2 s[0:1], s[4:5], 0x10
	s_add_u32 s6, s2, 8
	s_addc_u32 s7, s3, 0
	v_mov_b32_e32 v1, 0
	v_mov_b32_e32 v2, 0
	s_waitcnt lgkmcnt(0)
	s_add_u32 s14, s0, 8
	s_addc_u32 s15, s1, 0
	s_mov_b64 s[16:17], 1
.LBB0_2:                                ; =>This Inner Loop Header: Depth=1
	s_load_dwordx2 s[18:19], s[14:15], 0x0
                                        ; implicit-def: $vgpr7_vgpr8
	s_waitcnt lgkmcnt(0)
	v_or_b32_e32 v4, s19, v6
	v_cmp_ne_u64_e32 vcc, 0, v[3:4]
	s_and_saveexec_b64 s[0:1], vcc
	s_xor_b64 s[20:21], exec, s[0:1]
	s_cbranch_execz .LBB0_4
; %bb.3:                                ;   in Loop: Header=BB0_2 Depth=1
	v_cvt_f32_u32_e32 v4, s18
	v_cvt_f32_u32_e32 v7, s19
	s_sub_u32 s0, 0, s18
	s_subb_u32 s1, 0, s19
	v_mac_f32_e32 v4, 0x4f800000, v7
	v_rcp_f32_e32 v4, v4
	v_mul_f32_e32 v4, 0x5f7ffffc, v4
	v_mul_f32_e32 v7, 0x2f800000, v4
	v_trunc_f32_e32 v7, v7
	v_mac_f32_e32 v4, 0xcf800000, v7
	v_cvt_u32_f32_e32 v7, v7
	v_cvt_u32_f32_e32 v4, v4
	v_mul_lo_u32 v8, s0, v7
	v_mul_hi_u32 v9, s0, v4
	v_mul_lo_u32 v11, s1, v4
	v_mul_lo_u32 v10, s0, v4
	v_add_u32_e32 v8, v9, v8
	v_add_u32_e32 v8, v8, v11
	v_mul_hi_u32 v9, v4, v10
	v_mul_lo_u32 v11, v4, v8
	v_mul_hi_u32 v13, v4, v8
	v_mul_hi_u32 v12, v7, v10
	v_mul_lo_u32 v10, v7, v10
	v_mul_hi_u32 v14, v7, v8
	v_add_co_u32_e32 v9, vcc, v9, v11
	v_addc_co_u32_e32 v11, vcc, 0, v13, vcc
	v_mul_lo_u32 v8, v7, v8
	v_add_co_u32_e32 v9, vcc, v9, v10
	v_addc_co_u32_e32 v9, vcc, v11, v12, vcc
	v_addc_co_u32_e32 v10, vcc, 0, v14, vcc
	v_add_co_u32_e32 v8, vcc, v9, v8
	v_addc_co_u32_e32 v9, vcc, 0, v10, vcc
	v_add_co_u32_e32 v4, vcc, v4, v8
	v_addc_co_u32_e32 v7, vcc, v7, v9, vcc
	v_mul_lo_u32 v8, s0, v7
	v_mul_hi_u32 v9, s0, v4
	v_mul_lo_u32 v10, s1, v4
	v_mul_lo_u32 v11, s0, v4
	v_add_u32_e32 v8, v9, v8
	v_add_u32_e32 v8, v8, v10
	v_mul_lo_u32 v12, v4, v8
	v_mul_hi_u32 v13, v4, v11
	v_mul_hi_u32 v14, v4, v8
	;; [unrolled: 1-line block ×3, first 2 shown]
	v_mul_lo_u32 v11, v7, v11
	v_mul_hi_u32 v9, v7, v8
	v_add_co_u32_e32 v12, vcc, v13, v12
	v_addc_co_u32_e32 v13, vcc, 0, v14, vcc
	v_mul_lo_u32 v8, v7, v8
	v_add_co_u32_e32 v11, vcc, v12, v11
	v_addc_co_u32_e32 v10, vcc, v13, v10, vcc
	v_addc_co_u32_e32 v9, vcc, 0, v9, vcc
	v_add_co_u32_e32 v8, vcc, v10, v8
	v_addc_co_u32_e32 v9, vcc, 0, v9, vcc
	v_add_co_u32_e32 v4, vcc, v4, v8
	v_addc_co_u32_e32 v9, vcc, v7, v9, vcc
	v_mad_u64_u32 v[7:8], s[0:1], v5, v9, 0
	v_mul_hi_u32 v10, v5, v4
	v_add_co_u32_e32 v11, vcc, v10, v7
	v_addc_co_u32_e32 v12, vcc, 0, v8, vcc
	v_mad_u64_u32 v[7:8], s[0:1], v6, v4, 0
	v_mad_u64_u32 v[9:10], s[0:1], v6, v9, 0
	v_add_co_u32_e32 v4, vcc, v11, v7
	v_addc_co_u32_e32 v4, vcc, v12, v8, vcc
	v_addc_co_u32_e32 v7, vcc, 0, v10, vcc
	v_add_co_u32_e32 v4, vcc, v4, v9
	v_addc_co_u32_e32 v9, vcc, 0, v7, vcc
	v_mul_lo_u32 v10, s19, v4
	v_mul_lo_u32 v11, s18, v9
	v_mad_u64_u32 v[7:8], s[0:1], s18, v4, 0
	v_add3_u32 v8, v8, v11, v10
	v_sub_u32_e32 v10, v6, v8
	v_mov_b32_e32 v11, s19
	v_sub_co_u32_e32 v7, vcc, v5, v7
	v_subb_co_u32_e64 v10, s[0:1], v10, v11, vcc
	v_subrev_co_u32_e64 v11, s[0:1], s18, v7
	v_subbrev_co_u32_e64 v10, s[0:1], 0, v10, s[0:1]
	v_cmp_le_u32_e64 s[0:1], s19, v10
	v_cndmask_b32_e64 v12, 0, -1, s[0:1]
	v_cmp_le_u32_e64 s[0:1], s18, v11
	v_cndmask_b32_e64 v11, 0, -1, s[0:1]
	v_cmp_eq_u32_e64 s[0:1], s19, v10
	v_cndmask_b32_e64 v10, v12, v11, s[0:1]
	v_add_co_u32_e64 v11, s[0:1], 2, v4
	v_addc_co_u32_e64 v12, s[0:1], 0, v9, s[0:1]
	v_add_co_u32_e64 v13, s[0:1], 1, v4
	v_addc_co_u32_e64 v14, s[0:1], 0, v9, s[0:1]
	v_subb_co_u32_e32 v8, vcc, v6, v8, vcc
	v_cmp_ne_u32_e64 s[0:1], 0, v10
	v_cmp_le_u32_e32 vcc, s19, v8
	v_cndmask_b32_e64 v10, v14, v12, s[0:1]
	v_cndmask_b32_e64 v12, 0, -1, vcc
	v_cmp_le_u32_e32 vcc, s18, v7
	v_cndmask_b32_e64 v7, 0, -1, vcc
	v_cmp_eq_u32_e32 vcc, s19, v8
	v_cndmask_b32_e32 v7, v12, v7, vcc
	v_cmp_ne_u32_e32 vcc, 0, v7
	v_cndmask_b32_e64 v7, v13, v11, s[0:1]
	v_cndmask_b32_e32 v8, v9, v10, vcc
	v_cndmask_b32_e32 v7, v4, v7, vcc
.LBB0_4:                                ;   in Loop: Header=BB0_2 Depth=1
	s_andn2_saveexec_b64 s[0:1], s[20:21]
	s_cbranch_execz .LBB0_6
; %bb.5:                                ;   in Loop: Header=BB0_2 Depth=1
	v_cvt_f32_u32_e32 v4, s18
	s_sub_i32 s20, 0, s18
	v_rcp_iflag_f32_e32 v4, v4
	v_mul_f32_e32 v4, 0x4f7ffffe, v4
	v_cvt_u32_f32_e32 v4, v4
	v_mul_lo_u32 v7, s20, v4
	v_mul_hi_u32 v7, v4, v7
	v_add_u32_e32 v4, v4, v7
	v_mul_hi_u32 v4, v5, v4
	v_mul_lo_u32 v7, v4, s18
	v_add_u32_e32 v8, 1, v4
	v_sub_u32_e32 v7, v5, v7
	v_subrev_u32_e32 v9, s18, v7
	v_cmp_le_u32_e32 vcc, s18, v7
	v_cndmask_b32_e32 v7, v7, v9, vcc
	v_cndmask_b32_e32 v4, v4, v8, vcc
	v_add_u32_e32 v8, 1, v4
	v_cmp_le_u32_e32 vcc, s18, v7
	v_cndmask_b32_e32 v7, v4, v8, vcc
	v_mov_b32_e32 v8, v3
.LBB0_6:                                ;   in Loop: Header=BB0_2 Depth=1
	s_or_b64 exec, exec, s[0:1]
	v_mul_lo_u32 v4, v8, s18
	v_mul_lo_u32 v11, v7, s19
	v_mad_u64_u32 v[9:10], s[0:1], v7, s18, 0
	s_load_dwordx2 s[0:1], s[6:7], 0x0
	s_add_u32 s16, s16, 1
	v_add3_u32 v4, v10, v11, v4
	v_sub_co_u32_e32 v5, vcc, v5, v9
	v_subb_co_u32_e32 v4, vcc, v6, v4, vcc
	s_waitcnt lgkmcnt(0)
	v_mul_lo_u32 v4, s0, v4
	v_mul_lo_u32 v6, s1, v5
	v_mad_u64_u32 v[1:2], s[0:1], s0, v5, v[1:2]
	s_addc_u32 s17, s17, 0
	s_add_u32 s6, s6, 8
	v_add3_u32 v2, v6, v2, v4
	v_mov_b32_e32 v4, s10
	v_mov_b32_e32 v5, s11
	s_addc_u32 s7, s7, 0
	v_cmp_ge_u64_e32 vcc, s[16:17], v[4:5]
	s_add_u32 s14, s14, 8
	s_addc_u32 s15, s15, 0
	s_cbranch_vccnz .LBB0_9
; %bb.7:                                ;   in Loop: Header=BB0_2 Depth=1
	v_mov_b32_e32 v5, v7
	v_mov_b32_e32 v6, v8
	s_branch .LBB0_2
.LBB0_8:
	v_mov_b32_e32 v8, v6
	v_mov_b32_e32 v7, v5
.LBB0_9:
	s_lshl_b64 s[0:1], s[10:11], 3
	s_add_u32 s0, s2, s0
	s_addc_u32 s1, s3, s1
	s_load_dwordx2 s[2:3], s[0:1], 0x0
	s_load_dwordx2 s[6:7], s[4:5], 0x20
                                        ; implicit-def: $vgpr52
                                        ; implicit-def: $vgpr53
                                        ; implicit-def: $vgpr22
                                        ; implicit-def: $vgpr57
                                        ; implicit-def: $vgpr40
                                        ; implicit-def: $vgpr54
                                        ; implicit-def: $vgpr12
                                        ; implicit-def: $vgpr55
                                        ; implicit-def: $vgpr9
                                        ; implicit-def: $vgpr58
                                        ; implicit-def: $vgpr24
                                        ; implicit-def: $vgpr56
                                        ; implicit-def: $vgpr10
                                        ; implicit-def: $vgpr60
                                        ; implicit-def: $vgpr23
                                        ; implicit-def: $vgpr62
                                        ; implicit-def: $vgpr20
                                        ; implicit-def: $vgpr59
                                        ; implicit-def: $vgpr11
                                        ; implicit-def: $vgpr64
                                        ; implicit-def: $vgpr61
                                        ; implicit-def: $vgpr13
                                        ; implicit-def: $vgpr63
                                        ; implicit-def: $vgpr14
                                        ; implicit-def: $vgpr65
                                        ; implicit-def: $vgpr6
                                        ; implicit-def: $vgpr66
                                        ; implicit-def: $vgpr48
                                        ; implicit-def: $vgpr26
                                        ; implicit-def: $vgpr49
                                        ; implicit-def: $vgpr27
                                        ; implicit-def: $vgpr41
                                        ; implicit-def: $vgpr18
                                        ; implicit-def: $vgpr67
                                        ; implicit-def: $vgpr25
                                        ; implicit-def: $vgpr68
                                        ; implicit-def: $vgpr21
                                        ; implicit-def: $vgpr69
                                        ; implicit-def: $vgpr46
                                        ; implicit-def: $vgpr71
                                        ; implicit-def: $vgpr47
                                        ; implicit-def: $vgpr70
                                        ; implicit-def: $vgpr15
                                        ; implicit-def: $vgpr72
                                        ; implicit-def: $vgpr50
                                        ; implicit-def: $vgpr73
                                        ; implicit-def: $vgpr16
                                        ; implicit-def: $vgpr75
                                        ; implicit-def: $vgpr51
                                        ; implicit-def: $vgpr74
                                        ; implicit-def: $vgpr17
	s_waitcnt lgkmcnt(0)
	v_mad_u64_u32 v[1:2], s[0:1], s2, v7, v[1:2]
	v_mul_lo_u32 v3, s2, v8
	v_mul_lo_u32 v4, s3, v7
	s_mov_b32 s0, 0x4104105
	v_mul_hi_u32 v5, v0, s0
	v_cmp_gt_u64_e64 s[0:1], s[6:7], v[7:8]
	v_add3_u32 v2, v4, v2, v3
	v_lshlrev_b64 v[2:3], 2, v[1:2]
	v_mul_u32_u24_e32 v4, 63, v5
	v_sub_u32_e32 v0, v0, v4
                                        ; implicit-def: $vgpr1
                                        ; implicit-def: $vgpr7
                                        ; implicit-def: $vgpr8
	s_and_saveexec_b64 s[2:3], s[0:1]
	s_cbranch_execz .LBB0_13
; %bb.10:
	v_mov_b32_e32 v1, 0
	v_mov_b32_e32 v4, s13
	v_add_co_u32_e32 v6, vcc, s12, v2
	v_addc_co_u32_e32 v7, vcc, v4, v3, vcc
	v_lshlrev_b64 v[4:5], 2, v[0:1]
                                        ; implicit-def: $vgpr41
                                        ; implicit-def: $vgpr27
                                        ; implicit-def: $vgpr49
                                        ; implicit-def: $vgpr26
                                        ; implicit-def: $vgpr48
	v_add_co_u32_e32 v4, vcc, v6, v4
	v_addc_co_u32_e32 v5, vcc, v7, v5, vcc
	v_add_co_u32_e32 v18, vcc, 0x1000, v4
	v_addc_co_u32_e32 v19, vcc, 0, v5, vcc
	global_load_dword v1, v[4:5], off
	global_load_dword v17, v[4:5], off offset:252
	global_load_dword v16, v[4:5], off offset:504
	;; [unrolled: 1-line block ×23, first 2 shown]
	v_cmp_gt_u32_e32 vcc, 21, v0
                                        ; implicit-def: $vgpr18
	s_and_saveexec_b64 s[4:5], vcc
	s_cbranch_execz .LBB0_12
; %bb.11:
	v_add_co_u32_e32 v28, vcc, 0x1000, v4
	v_addc_co_u32_e32 v29, vcc, 0, v5, vcc
	global_load_dword v18, v[4:5], off offset:2016
	global_load_dword v26, v[28:29], off offset:20
	;; [unrolled: 1-line block ×3, first 2 shown]
	s_waitcnt vmcnt(2)
	v_lshrrev_b32_e32 v41, 16, v18
	s_waitcnt vmcnt(1)
	v_lshrrev_b32_e32 v48, 16, v26
	s_waitcnt vmcnt(0)
	v_lshrrev_b32_e32 v49, 16, v27
.LBB0_12:
	s_or_b64 exec, exec, s[4:5]
	s_waitcnt vmcnt(23)
	v_lshrrev_b32_e32 v52, 16, v1
	s_waitcnt vmcnt(15)
	v_lshrrev_b32_e32 v53, 16, v22
	;; [unrolled: 2-line block ×3, first 2 shown]
	v_lshrrev_b32_e32 v74, 16, v17
	v_lshrrev_b32_e32 v54, 16, v12
	s_waitcnt vmcnt(6)
	v_lshrrev_b32_e32 v75, 16, v51
	v_lshrrev_b32_e32 v73, 16, v16
	v_lshrrev_b32_e32 v55, 16, v9
	s_waitcnt vmcnt(5)
	v_lshrrev_b32_e32 v58, 16, v24
	;; [unrolled: 4-line block ×7, first 2 shown]
.LBB0_13:
	s_or_b64 exec, exec, s[2:3]
	v_add_f16_e32 v4, v22, v40
	v_fma_f16 v4, v4, -0.5, v1
	v_sub_f16_e32 v5, v53, v57
	s_mov_b32 s2, 0xbaee
	s_movk_i32 s3, 0x3aee
	v_fma_f16 v19, v5, s2, v4
	v_fma_f16 v28, v5, s3, v4
	v_add_f16_e32 v4, v51, v12
	v_fma_f16 v4, v4, -0.5, v17
	v_sub_f16_e32 v5, v54, v75
	v_fma_f16 v29, v5, s2, v4
	v_fma_f16 v30, v5, s3, v4
	v_add_f16_e32 v4, v9, v24
	v_fma_f16 v4, v4, -0.5, v16
	v_sub_f16_e32 v5, v55, v58
	;; [unrolled: 5-line block ×4, first 2 shown]
	v_add_f16_e32 v1, v1, v22
	v_fma_f16 v35, v5, s2, v4
	v_fma_f16 v36, v5, s3, v4
	v_add_f16_e32 v4, v46, v7
	v_add_f16_e32 v1, v1, v40
	v_mad_u32_u24 v76, v0, 6, 0
	v_fma_f16 v4, v4, -0.5, v11
	v_sub_f16_e32 v5, v64, v69
	ds_write_b16 v76, v1
	ds_write_b16 v76, v19 offset:2
	ds_write_b16 v76, v28 offset:4
	v_add_f16_e32 v1, v17, v12
	v_fma_f16 v37, v5, s2, v4
	v_fma_f16 v38, v5, s3, v4
	v_add_f16_e32 v4, v25, v21
	v_add_f16_e32 v1, v51, v1
	;; [unrolled: 1-line block ×3, first 2 shown]
	v_fma_f16 v4, v4, -0.5, v13
	v_sub_f16_e32 v5, v68, v67
	ds_write_b16 v76, v1 offset:378
	ds_write_b16 v76, v29 offset:380
	;; [unrolled: 1-line block ×3, first 2 shown]
	v_add_f16_e32 v1, v16, v9
	v_add_f16_e32 v16, v10, v23
	;; [unrolled: 1-line block ×3, first 2 shown]
	v_fma_f16 v39, v5, s2, v4
	v_fma_f16 v42, v5, s3, v4
	v_add_f16_e32 v4, v6, v8
	v_add_f16_e32 v15, v10, v20
	v_add_f16_e32 v10, v11, v7
	v_fma_f16 v4, v4, -0.5, v14
	v_sub_f16_e32 v5, v65, v66
	v_add_f16_e32 v11, v10, v46
	v_add_f16_e32 v10, v21, v13
	v_fma_f16 v43, v5, s2, v4
	v_fma_f16 v44, v5, s3, v4
	v_add_f16_e32 v4, v26, v27
	v_add_f16_e32 v13, v25, v10
	;; [unrolled: 1-line block ×3, first 2 shown]
	v_fma_f16 v4, v4, -0.5, v18
	v_sub_f16_e32 v45, v48, v49
	v_add_f16_e32 v14, v10, v8
	v_add_f16_e32 v10, v26, v18
	v_fma_f16 v5, v45, s2, v4
	v_fma_f16 v4, v45, s3, v4
	v_add_f16_e32 v1, v1, v24
	v_add_f16_e32 v10, v27, v10
	v_add_u32_e32 v77, 0x46e, v76
	v_cmp_gt_u32_e32 vcc, 21, v0
	ds_write_b16 v76, v1 offset:756
	ds_write_b16 v76, v31 offset:758
	;; [unrolled: 1-line block ×18, first 2 shown]
	s_and_saveexec_b64 s[2:3], vcc
	s_cbranch_execz .LBB0_15
; %bb.14:
	ds_write_b16 v77, v10 offset:1890
	ds_write_b16 v77, v5 offset:1892
	;; [unrolled: 1-line block ×3, first 2 shown]
.LBB0_15:
	s_or_b64 exec, exec, s[2:3]
	v_lshl_add_u32 v1, v0, 1, 0
	s_waitcnt lgkmcnt(0)
	; wave barrier
	s_waitcnt lgkmcnt(0)
	ds_read_u16 v19, v1
	ds_read_u16 v17, v1 offset:126
	ds_read_u16 v11, v1 offset:252
	;; [unrolled: 1-line block ×23, first 2 shown]
	s_and_saveexec_b64 s[2:3], vcc
	s_cbranch_execz .LBB0_17
; %bb.16:
	ds_read_u16 v10, v1 offset:1008
	ds_read_u16 v5, v1 offset:2058
	;; [unrolled: 1-line block ×3, first 2 shown]
.LBB0_17:
	s_or_b64 exec, exec, s[2:3]
	v_add_f16_e32 v78, v52, v53
	v_add_f16_e32 v53, v53, v57
	v_fma_f16 v52, v53, -0.5, v52
	v_sub_f16_e32 v22, v22, v40
	s_movk_i32 s2, 0x3aee
	s_mov_b32 s3, 0xbaee
	v_add_f16_e32 v40, v74, v54
	v_fma_f16 v53, v22, s2, v52
	v_fma_f16 v22, v22, s3, v52
	v_add_f16_e32 v52, v75, v40
	v_add_f16_e32 v40, v75, v54
	v_fma_f16 v40, v40, -0.5, v74
	v_sub_f16_e32 v12, v12, v51
	v_fma_f16 v51, v12, s2, v40
	v_fma_f16 v54, v12, s3, v40
	v_add_f16_e32 v12, v73, v55
	v_add_f16_e32 v78, v78, v57
	v_add_f16_e32 v57, v12, v58
	v_add_f16_e32 v12, v55, v58
	v_fma_f16 v12, v12, -0.5, v73
	v_sub_f16_e32 v9, v9, v24
	v_fma_f16 v24, v9, s2, v12
	v_fma_f16 v9, v9, s3, v12
	v_add_f16_e32 v12, v72, v56
	v_add_f16_e32 v55, v12, v60
	v_add_f16_e32 v12, v72, v60
	v_fma_f16 v12, v12, -0.5, v56
	v_sub_f16_e32 v23, v50, v23
	v_fma_f16 v50, v23, s2, v12
	v_fma_f16 v23, v23, s3, v12
	v_add_f16_e32 v12, v71, v70
	v_add_f16_e32 v56, v12, v62
	v_add_f16_e32 v12, v71, v62
	;; [unrolled: 7-line block ×5, first 2 shown]
	v_fma_f16 v12, v12, -0.5, v63
	v_sub_f16_e32 v6, v6, v8
	v_add_f16_e32 v40, v48, v49
	v_fma_f16 v8, v6, s2, v12
	v_fma_f16 v6, v6, s3, v12
	v_add_f16_e32 v12, v48, v41
	v_fma_f16 v40, v40, -0.5, v41
	v_sub_f16_e32 v26, v26, v27
	v_add_f16_e32 v12, v49, v12
	v_fma_f16 v41, v26, s2, v40
	v_fma_f16 v40, v26, s3, v40
	s_waitcnt lgkmcnt(0)
	; wave barrier
	s_waitcnt lgkmcnt(0)
	ds_write_b16 v76, v78
	ds_write_b16 v76, v53 offset:2
	ds_write_b16 v76, v22 offset:4
	;; [unrolled: 1-line block ×23, first 2 shown]
	s_and_saveexec_b64 s[2:3], vcc
	s_cbranch_execz .LBB0_19
; %bb.18:
	ds_write_b16 v77, v12 offset:1890
	ds_write_b16 v77, v41 offset:1892
	;; [unrolled: 1-line block ×3, first 2 shown]
.LBB0_19:
	s_or_b64 exec, exec, s[2:3]
	s_waitcnt lgkmcnt(0)
	; wave barrier
	s_waitcnt lgkmcnt(0)
	ds_read_u16 v27, v1
	ds_read_u16 v26, v1 offset:126
	ds_read_u16 v25, v1 offset:252
	;; [unrolled: 1-line block ×23, first 2 shown]
	s_and_saveexec_b64 s[2:3], vcc
	s_cbranch_execz .LBB0_21
; %bb.20:
	ds_read_u16 v12, v1 offset:1008
	ds_read_u16 v41, v1 offset:2058
	;; [unrolled: 1-line block ×3, first 2 shown]
.LBB0_21:
	s_or_b64 exec, exec, s[2:3]
	s_movk_i32 s2, 0xab
	v_add_u32_e32 v7, 63, v0
	v_mul_lo_u16_sdwa v6, v0, s2 dst_sel:DWORD dst_unused:UNUSED_PAD src0_sel:BYTE_0 src1_sel:DWORD
	v_mul_lo_u16_sdwa v9, v7, s2 dst_sel:DWORD dst_unused:UNUSED_PAD src0_sel:BYTE_0 src1_sel:DWORD
	v_lshrrev_b16_e32 v82, 9, v6
	v_lshrrev_b16_e32 v84, 9, v9
	v_mul_lo_u16_e32 v6, 3, v82
	v_mul_lo_u16_e32 v9, 3, v84
	v_sub_u16_e32 v83, v0, v6
	v_mov_b32_e32 v6, 3
	v_sub_u16_e32 v85, v7, v9
	v_lshlrev_b32_sdwa v8, v6, v83 dst_sel:DWORD dst_unused:UNUSED_PAD src0_sel:DWORD src1_sel:BYTE_0
	v_lshlrev_b32_sdwa v9, v6, v85 dst_sel:DWORD dst_unused:UNUSED_PAD src0_sel:DWORD src1_sel:BYTE_0
	global_load_dwordx2 v[64:65], v8, s[8:9]
	global_load_dwordx2 v[66:67], v9, s[8:9]
	v_add_u32_e32 v8, 0x7e, v0
	v_mul_lo_u16_sdwa v62, v8, s2 dst_sel:DWORD dst_unused:UNUSED_PAD src0_sel:BYTE_0 src1_sel:DWORD
	v_lshrrev_b16_e32 v86, 9, v62
	v_mul_lo_u16_e32 v9, 3, v86
	v_sub_u16_e32 v87, v8, v9
	v_lshlrev_b32_sdwa v9, v6, v87 dst_sel:DWORD dst_unused:UNUSED_PAD src0_sel:DWORD src1_sel:BYTE_0
	global_load_dwordx2 v[68:69], v9, s[8:9]
	v_add_u32_e32 v9, 0xbd, v0
	v_mul_lo_u16_sdwa v62, v9, s2 dst_sel:DWORD dst_unused:UNUSED_PAD src0_sel:BYTE_0 src1_sel:DWORD
	v_lshrrev_b16_e32 v88, 9, v62
	v_mul_lo_u16_e32 v62, 3, v88
	v_sub_u16_e32 v89, v9, v62
	v_lshlrev_b32_sdwa v6, v6, v89 dst_sel:DWORD dst_unused:UNUSED_PAD src0_sel:DWORD src1_sel:BYTE_0
	global_load_dwordx2 v[70:71], v6, s[8:9]
	v_add_u32_e32 v6, 0xfc, v0
	s_mov_b32 s2, 0xaaab
	v_mul_u32_u24_sdwa v62, v6, s2 dst_sel:DWORD dst_unused:UNUSED_PAD src0_sel:WORD_0 src1_sel:DWORD
	v_lshrrev_b32_e32 v90, 17, v62
	v_mul_lo_u16_e32 v62, 3, v90
	v_sub_u16_e32 v91, v6, v62
	v_lshlrev_b32_e32 v62, 3, v91
	global_load_dwordx2 v[72:73], v62, s[8:9]
	v_add_u32_e32 v62, 0x13b, v0
	v_mul_u32_u24_sdwa v63, v62, s2 dst_sel:DWORD dst_unused:UNUSED_PAD src0_sel:WORD_0 src1_sel:DWORD
	v_lshrrev_b32_e32 v92, 17, v63
	v_mul_lo_u16_e32 v63, 3, v92
	v_sub_u16_e32 v93, v62, v63
	v_lshlrev_b32_e32 v62, 3, v93
	global_load_dwordx2 v[74:75], v62, s[8:9]
	v_add_u32_e32 v62, 0x17a, v0
	;; [unrolled: 7-line block ×4, first 2 shown]
	v_mul_u32_u24_sdwa v63, v62, s2 dst_sel:DWORD dst_unused:UNUSED_PAD src0_sel:WORD_0 src1_sel:DWORD
	v_lshrrev_b32_e32 v98, 17, v63
	v_mul_lo_u16_e32 v63, 3, v98
	v_sub_u16_e32 v99, v62, v63
	v_lshlrev_b32_e32 v62, 3, v99
	global_load_dwordx2 v[80:81], v62, s[8:9]
	s_mov_b32 s4, 0xbaee
	s_movk_i32 s5, 0x3aee
	s_waitcnt lgkmcnt(0)
	; wave barrier
	s_waitcnt vmcnt(8) lgkmcnt(0)
	v_mul_f16_sdwa v62, v58, v64 dst_sel:DWORD dst_unused:UNUSED_PAD src0_sel:DWORD src1_sel:WORD_1
	v_mul_f16_sdwa v63, v42, v64 dst_sel:DWORD dst_unused:UNUSED_PAD src0_sel:DWORD src1_sel:WORD_1
	;; [unrolled: 1-line block ×3, first 2 shown]
	s_waitcnt vmcnt(7)
	v_mul_f16_sdwa v102, v57, v66 dst_sel:DWORD dst_unused:UNUSED_PAD src0_sel:DWORD src1_sel:WORD_1
	v_mul_f16_sdwa v101, v45, v65 dst_sel:DWORD dst_unused:UNUSED_PAD src0_sel:DWORD src1_sel:WORD_1
	;; [unrolled: 1-line block ×3, first 2 shown]
	v_fma_f16 v62, v42, v64, v62
	v_fma_f16 v64, v58, v64, -v63
	s_waitcnt vmcnt(6)
	v_mul_f16_sdwa v108, v59, v69 dst_sel:DWORD dst_unused:UNUSED_PAD src0_sel:DWORD src1_sel:WORD_1
	v_mul_f16_sdwa v109, v43, v69 dst_sel:DWORD dst_unused:UNUSED_PAD src0_sel:DWORD src1_sel:WORD_1
	v_fma_f16 v63, v45, v65, v100
	v_fma_f16 v45, v39, v66, v102
	;; [unrolled: 1-line block ×3, first 2 shown]
	v_mul_f16_sdwa v104, v60, v67 dst_sel:DWORD dst_unused:UNUSED_PAD src0_sel:DWORD src1_sel:WORD_1
	v_mul_f16_sdwa v105, v44, v67 dst_sel:DWORD dst_unused:UNUSED_PAD src0_sel:DWORD src1_sel:WORD_1
	s_waitcnt vmcnt(5)
	v_mul_f16_sdwa v43, v36, v70 dst_sel:DWORD dst_unused:UNUSED_PAD src0_sel:DWORD src1_sel:WORD_1
	v_mul_f16_sdwa v106, v56, v68 dst_sel:DWORD dst_unused:UNUSED_PAD src0_sel:DWORD src1_sel:WORD_1
	;; [unrolled: 1-line block ×4, first 2 shown]
	v_fma_f16 v43, v54, v70, -v43
	v_mov_b32_e32 v54, 1
	v_fma_f16 v61, v61, v65, -v101
	v_fma_f16 v58, v57, v66, -v103
	v_fma_f16 v57, v44, v67, v104
	v_fma_f16 v60, v60, v67, -v105
	v_fma_f16 v38, v38, v68, v106
	v_fma_f16 v44, v56, v68, -v107
	v_lshlrev_b32_sdwa v65, v54, v83 dst_sel:DWORD dst_unused:UNUSED_PAD src0_sel:DWORD src1_sel:BYTE_0
	v_lshlrev_b32_sdwa v66, v54, v85 dst_sel:DWORD dst_unused:UNUSED_PAD src0_sel:DWORD src1_sel:BYTE_0
	;; [unrolled: 1-line block ×4, first 2 shown]
	s_waitcnt vmcnt(4)
	v_mul_f16_sdwa v54, v52, v72 dst_sel:DWORD dst_unused:UNUSED_PAD src0_sel:DWORD src1_sel:WORD_1
	v_fma_f16 v54, v34, v72, v54
	v_mul_f16_sdwa v34, v34, v72 dst_sel:DWORD dst_unused:UNUSED_PAD src0_sel:DWORD src1_sel:WORD_1
	v_fma_f16 v34, v52, v72, -v34
	v_mul_f16_sdwa v52, v53, v73 dst_sel:DWORD dst_unused:UNUSED_PAD src0_sel:DWORD src1_sel:WORD_1
	v_fma_f16 v52, v35, v73, v52
	v_mul_f16_sdwa v35, v35, v73 dst_sel:DWORD dst_unused:UNUSED_PAD src0_sel:DWORD src1_sel:WORD_1
	v_fma_f16 v53, v53, v73, -v35
	s_waitcnt vmcnt(3)
	v_mul_f16_sdwa v35, v50, v74 dst_sel:DWORD dst_unused:UNUSED_PAD src0_sel:DWORD src1_sel:WORD_1
	v_fma_f16 v56, v59, v69, -v109
	v_mul_f16_sdwa v59, v55, v71 dst_sel:DWORD dst_unused:UNUSED_PAD src0_sel:DWORD src1_sel:WORD_1
	v_fma_f16 v35, v32, v74, v35
	v_mul_f16_sdwa v32, v32, v74 dst_sel:DWORD dst_unused:UNUSED_PAD src0_sel:DWORD src1_sel:WORD_1
	v_fma_f16 v36, v36, v70, v42
	v_fma_f16 v42, v37, v71, v59
	v_mul_f16_sdwa v37, v37, v71 dst_sel:DWORD dst_unused:UNUSED_PAD src0_sel:DWORD src1_sel:WORD_1
	v_fma_f16 v50, v50, v74, -v32
	v_mul_f16_sdwa v32, v51, v75 dst_sel:DWORD dst_unused:UNUSED_PAD src0_sel:DWORD src1_sel:WORD_1
	v_fma_f16 v37, v55, v71, -v37
	v_fma_f16 v55, v33, v75, v32
	v_mul_f16_sdwa v32, v33, v75 dst_sel:DWORD dst_unused:UNUSED_PAD src0_sel:DWORD src1_sel:WORD_1
	v_fma_f16 v51, v51, v75, -v32
	s_waitcnt vmcnt(2)
	v_mul_f16_sdwa v32, v48, v76 dst_sel:DWORD dst_unused:UNUSED_PAD src0_sel:DWORD src1_sel:WORD_1
	v_mul_f16_sdwa v33, v49, v77 dst_sel:DWORD dst_unused:UNUSED_PAD src0_sel:DWORD src1_sel:WORD_1
	v_fma_f16 v32, v30, v76, v32
	v_mul_f16_sdwa v30, v30, v76 dst_sel:DWORD dst_unused:UNUSED_PAD src0_sel:DWORD src1_sel:WORD_1
	v_fma_f16 v33, v31, v77, v33
	v_mul_f16_sdwa v31, v31, v77 dst_sel:DWORD dst_unused:UNUSED_PAD src0_sel:DWORD src1_sel:WORD_1
	v_fma_f16 v30, v48, v76, -v30
	v_fma_f16 v48, v49, v77, -v31
	s_waitcnt vmcnt(1)
	v_mul_f16_sdwa v31, v46, v78 dst_sel:DWORD dst_unused:UNUSED_PAD src0_sel:DWORD src1_sel:WORD_1
	v_fma_f16 v31, v28, v78, v31
	v_mul_f16_sdwa v28, v28, v78 dst_sel:DWORD dst_unused:UNUSED_PAD src0_sel:DWORD src1_sel:WORD_1
	v_fma_f16 v46, v46, v78, -v28
	v_mul_f16_sdwa v28, v47, v79 dst_sel:DWORD dst_unused:UNUSED_PAD src0_sel:DWORD src1_sel:WORD_1
	v_fma_f16 v49, v29, v79, v28
	v_mul_f16_sdwa v28, v29, v79 dst_sel:DWORD dst_unused:UNUSED_PAD src0_sel:DWORD src1_sel:WORD_1
	v_fma_f16 v47, v47, v79, -v28
	s_waitcnt vmcnt(0)
	v_mul_f16_sdwa v28, v41, v80 dst_sel:DWORD dst_unused:UNUSED_PAD src0_sel:DWORD src1_sel:WORD_1
	v_fma_f16 v59, v5, v80, v28
	v_mul_f16_sdwa v5, v5, v80 dst_sel:DWORD dst_unused:UNUSED_PAD src0_sel:DWORD src1_sel:WORD_1
	v_fma_f16 v28, v41, v80, -v5
	v_mul_f16_sdwa v5, v40, v81 dst_sel:DWORD dst_unused:UNUSED_PAD src0_sel:DWORD src1_sel:WORD_1
	v_fma_f16 v41, v4, v81, v5
	v_mul_f16_sdwa v4, v4, v81 dst_sel:DWORD dst_unused:UNUSED_PAD src0_sel:DWORD src1_sel:WORD_1
	v_fma_f16 v29, v40, v81, -v4
	v_add_f16_e32 v4, v62, v63
	v_fma_f16 v4, v4, -0.5, v19
	v_sub_f16_e32 v5, v64, v61
	v_fma_f16 v69, v5, s4, v4
	v_fma_f16 v70, v5, s5, v4
	v_add_f16_e32 v4, v45, v57
	v_fma_f16 v4, v4, -0.5, v17
	v_sub_f16_e32 v5, v58, v60
	v_fma_f16 v71, v5, s4, v4
	v_fma_f16 v72, v5, s5, v4
	;; [unrolled: 5-line block ×9, first 2 shown]
	v_mul_u32_u24_e32 v40, 18, v82
	v_add_f16_e32 v19, v19, v62
	v_add3_u32 v40, 0, v40, v65
	v_add_f16_e32 v19, v19, v63
	v_add_f16_e32 v14, v14, v54
	ds_write_b16 v40, v19
	ds_write_b16 v40, v69 offset:6
	ds_write_b16 v40, v70 offset:12
	v_mul_u32_u24_e32 v19, 18, v84
	v_add_f16_e32 v17, v17, v45
	v_add_f16_e32 v69, v14, v52
	;; [unrolled: 1-line block ×3, first 2 shown]
	v_add3_u32 v65, 0, v19, v66
	v_add_f16_e32 v17, v17, v57
	v_add_f16_e32 v15, v14, v55
	;; [unrolled: 1-line block ×3, first 2 shown]
	ds_write_b16 v65, v17
	ds_write_b16 v65, v71 offset:6
	v_add_f16_e32 v71, v14, v33
	v_add_f16_e32 v14, v18, v31
	;; [unrolled: 1-line block ×4, first 2 shown]
	v_mul_u32_u24_e32 v14, 18, v86
	v_add_f16_e32 v11, v11, v39
	v_add3_u32 v14, 0, v14, v67
	ds_write_b16 v65, v72 offset:12
	ds_write_b16 v14, v11
	ds_write_b16 v14, v73 offset:6
	ds_write_b16 v14, v74 offset:12
	v_mul_u32_u24_e32 v11, 18, v88
	v_lshlrev_b32_e32 v17, 1, v91
	v_add3_u32 v16, 0, v11, v68
	v_mul_u32_u24_e32 v11, 18, v90
	v_lshlrev_b32_e32 v19, 1, v93
	v_add_f16_e32 v13, v13, v36
	v_add3_u32 v18, 0, v11, v17
	v_mul_u32_u24_e32 v11, 18, v92
	v_lshlrev_b32_e32 v66, 1, v95
	v_add_f16_e32 v13, v13, v42
	v_add3_u32 v68, 0, v11, v19
	v_mul_u32_u24_e32 v11, 18, v94
	v_lshlrev_b32_e32 v70, 1, v97
	ds_write_b16 v16, v13
	ds_write_b16 v16, v75 offset:6
	ds_write_b16 v16, v76 offset:12
	ds_write_b16 v18, v69
	ds_write_b16 v18, v77 offset:6
	ds_write_b16 v18, v78 offset:12
	v_add3_u32 v69, 0, v11, v66
	v_mul_u32_u24_e32 v11, 18, v96
	v_add3_u32 v70, 0, v11, v70
	v_mul_lo_u16_e32 v66, 9, v98
	v_lshlrev_b32_e32 v67, 1, v99
	ds_write_b16 v68, v15
	ds_write_b16 v68, v79 offset:6
	ds_write_b16 v68, v80 offset:12
	ds_write_b16 v69, v71
	ds_write_b16 v69, v81 offset:6
	ds_write_b16 v69, v83 offset:12
	;; [unrolled: 3-line block ×3, first 2 shown]
	s_and_saveexec_b64 s[2:3], vcc
	s_cbranch_execz .LBB0_23
; %bb.22:
	v_add_f16_e32 v10, v10, v59
	v_lshlrev_b32_e32 v11, 1, v66
	v_add_f16_e32 v10, v10, v41
	v_add3_u32 v11, 0, v67, v11
	ds_write_b16 v11, v10
	ds_write_b16 v11, v5 offset:6
	ds_write_b16 v11, v4 offset:12
.LBB0_23:
	s_or_b64 exec, exec, s[2:3]
	v_add_f16_e32 v10, v27, v64
	v_add_f16_e32 v71, v10, v61
	v_add_f16_e32 v10, v64, v61
	v_fma_f16 v10, v10, -0.5, v27
	v_sub_f16_e32 v11, v62, v63
	v_fma_f16 v61, v11, s5, v10
	v_fma_f16 v62, v11, s4, v10
	v_add_f16_e32 v10, v26, v58
	v_add_f16_e32 v63, v10, v60
	v_add_f16_e32 v10, v58, v60
	v_fma_f16 v10, v10, -0.5, v26
	v_sub_f16_e32 v11, v45, v57
	v_fma_f16 v57, v11, s5, v10
	v_fma_f16 v58, v11, s4, v10
	;; [unrolled: 7-line block ×8, first 2 shown]
	v_add_f16_e32 v10, v28, v29
	v_fma_f16 v10, v10, -0.5, v12
	v_sub_f16_e32 v13, v59, v41
	v_fma_f16 v11, v13, s5, v10
	v_fma_f16 v10, v13, s4, v10
	s_waitcnt lgkmcnt(0)
	; wave barrier
	s_waitcnt lgkmcnt(0)
	ds_read_u16 v36, v1 offset:756
	ds_read_u16 v32, v1 offset:882
	ds_read_u16 v20, v1
	ds_read_u16 v19, v1 offset:126
	ds_read_u16 v17, v1 offset:252
	;; [unrolled: 1-line block ×22, first 2 shown]
	s_waitcnt lgkmcnt(0)
	; wave barrier
	s_waitcnt lgkmcnt(0)
	ds_write_b16 v40, v71
	ds_write_b16 v40, v61 offset:6
	ds_write_b16 v40, v62 offset:12
	ds_write_b16 v65, v63
	ds_write_b16 v65, v57 offset:6
	ds_write_b16 v65, v58 offset:12
	;; [unrolled: 3-line block ×8, first 2 shown]
	s_and_saveexec_b64 s[2:3], vcc
	s_cbranch_execz .LBB0_25
; %bb.24:
	v_add_f16_e32 v12, v12, v28
	v_lshlrev_b32_e32 v14, 1, v66
	v_add_f16_e32 v12, v12, v29
	v_add3_u32 v14, 0, v67, v14
	ds_write_b16 v14, v12
	ds_write_b16 v14, v11 offset:6
	ds_write_b16 v14, v10 offset:12
.LBB0_25:
	s_or_b64 exec, exec, s[2:3]
	v_mov_b32_e32 v12, 57
	v_mul_lo_u16_sdwa v14, v0, v12 dst_sel:DWORD dst_unused:UNUSED_PAD src0_sel:BYTE_0 src1_sel:DWORD
	v_lshrrev_b16_e32 v28, 9, v14
	v_mul_lo_u16_e32 v14, 9, v28
	v_sub_u16_e32 v29, v0, v14
	v_mov_b32_e32 v14, 4
	v_lshlrev_b32_sdwa v16, v14, v29 dst_sel:DWORD dst_unused:UNUSED_PAD src0_sel:DWORD src1_sel:BYTE_0
	s_waitcnt lgkmcnt(0)
	; wave barrier
	s_waitcnt lgkmcnt(0)
	global_load_dwordx4 v[46:49], v16, s[8:9] offset:24
	v_mul_lo_u16_sdwa v16, v7, v12 dst_sel:DWORD dst_unused:UNUSED_PAD src0_sel:BYTE_0 src1_sel:DWORD
	v_lshrrev_b16_e32 v40, 9, v16
	v_mul_lo_u16_e32 v16, 9, v40
	v_sub_u16_e32 v91, v7, v16
	v_lshlrev_b32_sdwa v16, v14, v91 dst_sel:DWORD dst_unused:UNUSED_PAD src0_sel:DWORD src1_sel:BYTE_0
	global_load_dwordx4 v[50:53], v16, s[8:9] offset:24
	v_mul_lo_u16_sdwa v16, v8, v12 dst_sel:DWORD dst_unused:UNUSED_PAD src0_sel:BYTE_0 src1_sel:DWORD
	v_lshrrev_b16_e32 v92, 9, v16
	v_mul_lo_u16_e32 v16, 9, v92
	v_sub_u16_e32 v93, v8, v16
	v_lshlrev_b32_sdwa v16, v14, v93 dst_sel:DWORD dst_unused:UNUSED_PAD src0_sel:DWORD src1_sel:BYTE_0
	;; [unrolled: 6-line block ×3, first 2 shown]
	global_load_dwordx4 v[83:86], v12, s[8:9] offset:24
	s_mov_b32 s2, 0xe38f
	v_mul_u32_u24_sdwa v18, v6, s2 dst_sel:DWORD dst_unused:UNUSED_PAD src0_sel:WORD_0 src1_sel:DWORD
	v_lshrrev_b32_e32 v96, 19, v18
	v_mul_lo_u16_e32 v18, 9, v96
	v_sub_u16_e32 v97, v6, v18
	v_lshlrev_b32_e32 v18, 4, v97
	ds_read_u16 v12, v1 offset:756
	ds_read_u16 v58, v1 offset:882
	ds_read_u16 v43, v1
	ds_read_u16 v22, v1 offset:126
	ds_read_u16 v16, v1 offset:252
	;; [unrolled: 1-line block ×7, first 2 shown]
	global_load_dwordx4 v[87:90], v18, s[8:9] offset:24
	ds_read_u16 v62, v1 offset:2016
	ds_read_u16 v70, v1 offset:2142
	;; [unrolled: 1-line block ×15, first 2 shown]
	s_mov_b32 s5, 0xbb9c
	s_movk_i32 s7, 0x3b9c
	s_mov_b32 s4, 0xb8b4
	s_movk_i32 s10, 0x38b4
	s_movk_i32 s6, 0x34f2
	s_waitcnt lgkmcnt(0)
	; wave barrier
	s_waitcnt lgkmcnt(0)
	v_cmp_gt_u32_e32 vcc, 36, v0
	s_waitcnt vmcnt(4)
	v_mul_f16_sdwa v71, v42, v46 dst_sel:DWORD dst_unused:UNUSED_PAD src0_sel:DWORD src1_sel:WORD_1
	v_mul_f16_sdwa v69, v65, v46 dst_sel:DWORD dst_unused:UNUSED_PAD src0_sel:DWORD src1_sel:WORD_1
	;; [unrolled: 1-line block ×3, first 2 shown]
	v_fma_f16 v74, v65, v46, -v71
	v_fma_f16 v81, v41, v48, v75
	v_mul_f16_sdwa v73, v45, v47 dst_sel:DWORD dst_unused:UNUSED_PAD src0_sel:DWORD src1_sel:WORD_1
	s_waitcnt vmcnt(3)
	v_mul_f16_sdwa v107, v36, v50 dst_sel:DWORD dst_unused:UNUSED_PAD src0_sel:DWORD src1_sel:WORD_1
	v_mul_f16_sdwa v106, v12, v50 dst_sel:DWORD dst_unused:UNUSED_PAD src0_sel:DWORD src1_sel:WORD_1
	v_fma_f16 v65, v12, v50, -v107
	v_mul_f16_sdwa v12, v64, v53 dst_sel:DWORD dst_unused:UNUSED_PAD src0_sel:DWORD src1_sel:WORD_1
	v_fma_f16 v75, v38, v53, v12
	v_mul_f16_sdwa v12, v38, v53 dst_sel:DWORD dst_unused:UNUSED_PAD src0_sel:DWORD src1_sel:WORD_1
	v_mul_f16_sdwa v111, v39, v52 dst_sel:DWORD dst_unused:UNUSED_PAD src0_sel:DWORD src1_sel:WORD_1
	v_fma_f16 v79, v42, v46, v69
	v_fma_f16 v69, v64, v53, -v12
	s_waitcnt vmcnt(2)
	v_mul_f16_sdwa v12, v58, v54 dst_sel:DWORD dst_unused:UNUSED_PAD src0_sel:DWORD src1_sel:WORD_1
	v_mul_f16_sdwa v72, v67, v47 dst_sel:DWORD dst_unused:UNUSED_PAD src0_sel:DWORD src1_sel:WORD_1
	;; [unrolled: 1-line block ×3, first 2 shown]
	v_fma_f16 v76, v67, v47, -v73
	v_fma_f16 v67, v62, v52, -v111
	v_fma_f16 v62, v32, v54, v12
	v_mul_f16_sdwa v12, v32, v54 dst_sel:DWORD dst_unused:UNUSED_PAD src0_sel:DWORD src1_sel:WORD_1
	v_fma_f16 v54, v58, v54, -v12
	v_mul_f16_sdwa v12, v61, v55 dst_sel:DWORD dst_unused:UNUSED_PAD src0_sel:DWORD src1_sel:WORD_1
	v_fma_f16 v64, v35, v55, v12
	v_mul_f16_sdwa v12, v35, v55 dst_sel:DWORD dst_unused:UNUSED_PAD src0_sel:DWORD src1_sel:WORD_1
	v_mul_f16_sdwa v78, v68, v49 dst_sel:DWORD dst_unused:UNUSED_PAD src0_sel:DWORD src1_sel:WORD_1
	;; [unrolled: 1-line block ×3, first 2 shown]
	v_fma_f16 v58, v61, v55, -v12
	v_mul_f16_sdwa v12, v70, v56 dst_sel:DWORD dst_unused:UNUSED_PAD src0_sel:DWORD src1_sel:WORD_1
	v_mul_f16_sdwa v77, v41, v48 dst_sel:DWORD dst_unused:UNUSED_PAD src0_sel:DWORD src1_sel:WORD_1
	;; [unrolled: 1-line block ×3, first 2 shown]
	v_fma_f16 v82, v44, v49, v78
	v_fma_f16 v78, v68, v49, -v105
	v_fma_f16 v68, v34, v56, v12
	v_mul_f16_sdwa v12, v34, v56 dst_sel:DWORD dst_unused:UNUSED_PAD src0_sel:DWORD src1_sel:WORD_1
	v_mul_f16_sdwa v108, v59, v51 dst_sel:DWORD dst_unused:UNUSED_PAD src0_sel:DWORD src1_sel:WORD_1
	v_fma_f16 v77, v66, v48, -v77
	v_fma_f16 v66, v59, v51, -v109
	;; [unrolled: 1-line block ×3, first 2 shown]
	v_mul_f16_sdwa v12, v99, v57 dst_sel:DWORD dst_unused:UNUSED_PAD src0_sel:DWORD src1_sel:WORD_1
	v_fma_f16 v70, v33, v57, v12
	v_mul_f16_sdwa v12, v33, v57 dst_sel:DWORD dst_unused:UNUSED_PAD src0_sel:DWORD src1_sel:WORD_1
	v_fma_f16 v61, v99, v57, -v12
	s_waitcnt vmcnt(1)
	v_mul_f16_sdwa v12, v60, v83 dst_sel:DWORD dst_unused:UNUSED_PAD src0_sel:DWORD src1_sel:WORD_1
	v_fma_f16 v55, v30, v83, v12
	v_mul_f16_sdwa v12, v30, v83 dst_sel:DWORD dst_unused:UNUSED_PAD src0_sel:DWORD src1_sel:WORD_1
	v_fma_f16 v80, v45, v47, v72
	v_fma_f16 v47, v60, v83, -v12
	v_mul_f16_sdwa v12, v63, v84 dst_sel:DWORD dst_unused:UNUSED_PAD src0_sel:DWORD src1_sel:WORD_1
	v_fma_f16 v57, v27, v84, v12
	v_mul_f16_sdwa v12, v27, v84 dst_sel:DWORD dst_unused:UNUSED_PAD src0_sel:DWORD src1_sel:WORD_1
	v_fma_f16 v71, v36, v50, v106
	v_fma_f16 v50, v63, v84, -v12
	;; [unrolled: 5-line block ×3, first 2 shown]
	v_mul_f16_sdwa v12, v100, v86 dst_sel:DWORD dst_unused:UNUSED_PAD src0_sel:DWORD src1_sel:WORD_1
	v_fma_f16 v63, v25, v86, v12
	v_mul_f16_sdwa v12, v25, v86 dst_sel:DWORD dst_unused:UNUSED_PAD src0_sel:DWORD src1_sel:WORD_1
	v_fma_f16 v53, v100, v86, -v12
	s_waitcnt vmcnt(0)
	v_mul_f16_sdwa v12, v102, v87 dst_sel:DWORD dst_unused:UNUSED_PAD src0_sel:DWORD src1_sel:WORD_1
	v_fma_f16 v48, v31, v87, v12
	v_mul_f16_sdwa v12, v31, v87 dst_sel:DWORD dst_unused:UNUSED_PAD src0_sel:DWORD src1_sel:WORD_1
	v_fma_f16 v42, v102, v87, -v12
	v_mul_f16_sdwa v12, v101, v88 dst_sel:DWORD dst_unused:UNUSED_PAD src0_sel:DWORD src1_sel:WORD_1
	v_fma_f16 v49, v23, v88, v12
	v_mul_f16_sdwa v12, v23, v88 dst_sel:DWORD dst_unused:UNUSED_PAD src0_sel:DWORD src1_sel:WORD_1
	v_fma_f16 v44, v101, v88, -v12
	v_mul_f16_sdwa v12, v103, v89 dst_sel:DWORD dst_unused:UNUSED_PAD src0_sel:DWORD src1_sel:WORD_1
	v_fma_f16 v73, v39, v52, v110
	v_fma_f16 v52, v24, v89, v12
	v_mul_f16_sdwa v12, v24, v89 dst_sel:DWORD dst_unused:UNUSED_PAD src0_sel:DWORD src1_sel:WORD_1
	v_fma_f16 v45, v103, v89, -v12
	v_mul_f16_sdwa v12, v104, v90 dst_sel:DWORD dst_unused:UNUSED_PAD src0_sel:DWORD src1_sel:WORD_1
	v_fma_f16 v56, v21, v90, v12
	v_mul_f16_sdwa v12, v21, v90 dst_sel:DWORD dst_unused:UNUSED_PAD src0_sel:DWORD src1_sel:WORD_1
	v_fma_f16 v46, v104, v90, -v12
	v_add_f16_e32 v12, v20, v79
	v_add_f16_e32 v12, v12, v80
	;; [unrolled: 1-line block ×5, first 2 shown]
	v_fma_f16 v12, v12, -0.5, v20
	v_sub_f16_e32 v23, v74, v78
	v_fma_f16 v24, v23, s5, v12
	v_sub_f16_e32 v25, v76, v77
	v_sub_f16_e32 v26, v79, v80
	;; [unrolled: 1-line block ×3, first 2 shown]
	v_fma_f16 v12, v23, s7, v12
	v_fma_f16 v24, v25, s4, v24
	v_add_f16_e32 v26, v26, v27
	v_fma_f16 v12, v25, s10, v12
	v_fma_f16 v24, v26, s6, v24
	;; [unrolled: 1-line block ×3, first 2 shown]
	v_add_f16_e32 v12, v79, v82
	v_fma_f16 v12, v12, -0.5, v20
	v_fma_f16 v20, v25, s7, v12
	v_sub_f16_e32 v27, v80, v79
	v_sub_f16_e32 v30, v81, v82
	v_fma_f16 v12, v25, s5, v12
	v_add_f16_e32 v27, v27, v30
	v_fma_f16 v12, v23, s10, v12
	v_fma_f16 v20, v23, s4, v20
	;; [unrolled: 1-line block ×3, first 2 shown]
	v_add_f16_e32 v12, v19, v71
	v_add_f16_e32 v12, v12, v72
	;; [unrolled: 1-line block ×5, first 2 shown]
	v_fma_f16 v30, v27, s6, v20
	v_fma_f16 v12, v12, -0.5, v19
	v_sub_f16_e32 v20, v65, v69
	v_fma_f16 v27, v20, s5, v12
	v_sub_f16_e32 v31, v66, v67
	v_sub_f16_e32 v32, v71, v72
	;; [unrolled: 1-line block ×3, first 2 shown]
	v_fma_f16 v12, v20, s7, v12
	v_fma_f16 v27, v31, s4, v27
	v_add_f16_e32 v32, v32, v33
	v_fma_f16 v12, v31, s10, v12
	v_fma_f16 v27, v32, s6, v27
	;; [unrolled: 1-line block ×3, first 2 shown]
	v_add_f16_e32 v12, v71, v75
	v_fma_f16 v12, v12, -0.5, v19
	v_fma_f16 v19, v31, s7, v12
	v_sub_f16_e32 v33, v72, v71
	v_sub_f16_e32 v34, v73, v75
	v_fma_f16 v12, v31, s5, v12
	v_add_f16_e32 v33, v33, v34
	v_fma_f16 v12, v20, s10, v12
	v_fma_f16 v31, v33, s6, v12
	v_add_f16_e32 v12, v17, v62
	v_add_f16_e32 v12, v12, v64
	v_fma_f16 v19, v20, s4, v19
	v_add_f16_e32 v12, v12, v68
	v_fma_f16 v34, v33, s6, v19
	v_add_f16_e32 v33, v12, v70
	v_add_f16_e32 v12, v64, v68
	v_fma_f16 v12, v12, -0.5, v17
	v_sub_f16_e32 v19, v54, v61
	v_fma_f16 v20, v19, s5, v12
	v_sub_f16_e32 v35, v58, v59
	v_sub_f16_e32 v36, v62, v64
	;; [unrolled: 1-line block ×3, first 2 shown]
	v_fma_f16 v12, v19, s7, v12
	v_fma_f16 v20, v35, s4, v20
	v_add_f16_e32 v36, v36, v37
	v_fma_f16 v12, v35, s10, v12
	v_fma_f16 v37, v36, s6, v20
	v_fma_f16 v36, v36, s6, v12
	v_add_f16_e32 v12, v62, v70
	v_fma_f16 v12, v12, -0.5, v17
	v_fma_f16 v17, v35, s7, v12
	v_sub_f16_e32 v20, v64, v62
	v_sub_f16_e32 v38, v68, v70
	v_fma_f16 v12, v35, s5, v12
	v_add_f16_e32 v20, v20, v38
	v_fma_f16 v12, v19, s10, v12
	v_fma_f16 v35, v20, s6, v12
	v_add_f16_e32 v12, v15, v55
	v_add_f16_e32 v12, v12, v57
	;; [unrolled: 1-line block ×3, first 2 shown]
	v_fma_f16 v17, v19, s4, v17
	v_add_f16_e32 v39, v12, v63
	v_add_f16_e32 v12, v57, v60
	v_fma_f16 v38, v20, s6, v17
	v_fma_f16 v12, v12, -0.5, v15
	v_sub_f16_e32 v17, v47, v53
	v_fma_f16 v19, v17, s5, v12
	v_sub_f16_e32 v20, v50, v51
	v_sub_f16_e32 v41, v55, v57
	;; [unrolled: 1-line block ×3, first 2 shown]
	v_fma_f16 v12, v17, s7, v12
	v_fma_f16 v19, v20, s4, v19
	v_add_f16_e32 v41, v41, v83
	v_fma_f16 v12, v20, s10, v12
	v_fma_f16 v87, v41, s6, v19
	;; [unrolled: 1-line block ×3, first 2 shown]
	v_add_f16_e32 v12, v55, v63
	v_fma_f16 v12, v12, -0.5, v15
	v_fma_f16 v15, v20, s7, v12
	v_sub_f16_e32 v19, v57, v55
	v_sub_f16_e32 v83, v60, v63
	v_fma_f16 v12, v20, s5, v12
	v_add_f16_e32 v19, v19, v83
	v_fma_f16 v12, v17, s10, v12
	v_fma_f16 v88, v19, s6, v12
	v_add_f16_e32 v12, v13, v48
	v_add_f16_e32 v12, v12, v49
	;; [unrolled: 1-line block ×5, first 2 shown]
	v_fma_f16 v15, v17, s4, v15
	v_fma_f16 v17, v12, -0.5, v13
	v_sub_f16_e32 v20, v42, v46
	v_fma_f16 v15, v19, s6, v15
	v_fma_f16 v12, v20, s5, v17
	v_sub_f16_e32 v83, v44, v45
	v_sub_f16_e32 v19, v48, v49
	;; [unrolled: 1-line block ×3, first 2 shown]
	v_fma_f16 v17, v20, s7, v17
	v_fma_f16 v12, v83, s4, v12
	v_add_f16_e32 v19, v19, v84
	v_fma_f16 v17, v83, s10, v17
	v_fma_f16 v12, v19, s6, v12
	;; [unrolled: 1-line block ×3, first 2 shown]
	v_add_f16_e32 v19, v48, v56
	v_fma_f16 v13, v19, -0.5, v13
	v_fma_f16 v19, v83, s7, v13
	v_sub_f16_e32 v84, v49, v48
	v_sub_f16_e32 v85, v52, v56
	v_fma_f16 v13, v83, s5, v13
	v_add_f16_e32 v84, v84, v85
	v_fma_f16 v13, v20, s10, v13
	v_fma_f16 v19, v20, s4, v19
	;; [unrolled: 1-line block ×3, first 2 shown]
	v_mul_u32_u24_e32 v13, 0x5a, v28
	v_mov_b32_e32 v28, 1
	v_lshlrev_b32_sdwa v29, v28, v29 dst_sel:DWORD dst_unused:UNUSED_PAD src0_sel:DWORD src1_sel:BYTE_0
	v_add3_u32 v83, 0, v13, v29
	ds_write_b16 v83, v21
	ds_write_b16 v83, v24 offset:18
	ds_write_b16 v83, v30 offset:36
	;; [unrolled: 1-line block ×4, first 2 shown]
	v_mul_u32_u24_e32 v13, 0x5a, v40
	v_lshlrev_b32_sdwa v21, v28, v91 dst_sel:DWORD dst_unused:UNUSED_PAD src0_sel:DWORD src1_sel:BYTE_0
	v_fma_f16 v19, v84, s6, v19
	v_add3_u32 v84, 0, v13, v21
	v_mul_u32_u24_e32 v13, 0x5a, v92
	v_lshlrev_b32_sdwa v21, v28, v93 dst_sel:DWORD dst_unused:UNUSED_PAD src0_sel:DWORD src1_sel:BYTE_0
	v_add3_u32 v85, 0, v13, v21
	v_mul_u32_u24_e32 v13, 0x5a, v94
	v_lshlrev_b32_sdwa v21, v28, v95 dst_sel:DWORD dst_unused:UNUSED_PAD src0_sel:DWORD src1_sel:BYTE_0
	v_add3_u32 v86, 0, v13, v21
	ds_write_b16 v84, v25
	ds_write_b16 v84, v27 offset:18
	ds_write_b16 v84, v34 offset:36
	ds_write_b16 v84, v31 offset:54
	ds_write_b16 v84, v32 offset:72
	ds_write_b16 v85, v33
	ds_write_b16 v85, v37 offset:18
	ds_write_b16 v85, v38 offset:36
	ds_write_b16 v85, v35 offset:54
	ds_write_b16 v85, v36 offset:72
	ds_write_b16 v86, v39
	ds_write_b16 v86, v87 offset:18
	ds_write_b16 v86, v15 offset:36
	ds_write_b16 v86, v88 offset:54
	ds_write_b16 v86, v41 offset:72
	v_mul_u32_u24_e32 v13, 0x5a, v96
	v_lshlrev_b32_e32 v15, 1, v97
	v_add3_u32 v87, 0, v13, v15
	ds_write_b16 v87, v89
	ds_write_b16 v87, v12 offset:18
	ds_write_b16 v87, v19 offset:36
	;; [unrolled: 1-line block ×4, first 2 shown]
	s_waitcnt lgkmcnt(0)
	; wave barrier
	s_waitcnt lgkmcnt(0)
	ds_read_u16 v21, v1
	ds_read_u16 v15, v1 offset:126
	ds_read_u16 v34, v1 offset:576
	;; [unrolled: 1-line block ×20, first 2 shown]
                                        ; implicit-def: $vgpr23
	s_and_saveexec_b64 s[2:3], vcc
	s_cbranch_execz .LBB0_27
; %bb.26:
	ds_read_u16 v12, v1 offset:378
	ds_read_u16 v19, v1 offset:828
	ds_read_u16 v20, v1 offset:1278
	ds_read_u16 v17, v1 offset:1728
	ds_read_u16 v5, v1 offset:2178
	ds_read_u16 v4, v1 offset:2628
	ds_read_u16 v23, v1 offset:3078
.LBB0_27:
	s_or_b64 exec, exec, s[2:3]
	v_add_f16_e32 v89, v76, v77
	v_fma_f16 v89, v89, -0.5, v43
	v_sub_f16_e32 v79, v79, v82
	v_fma_f16 v82, v79, s7, v89
	v_sub_f16_e32 v80, v80, v81
	v_fma_f16 v81, v80, s10, v82
	v_sub_f16_e32 v82, v74, v76
	v_sub_f16_e32 v90, v78, v77
	v_fma_f16 v89, v79, s5, v89
	v_add_f16_e32 v82, v82, v90
	v_fma_f16 v89, v80, s4, v89
	v_fma_f16 v81, v82, s6, v81
	;; [unrolled: 1-line block ×3, first 2 shown]
	v_add_f16_e32 v89, v74, v78
	v_add_f16_e32 v88, v43, v74
	v_fma_f16 v43, v89, -0.5, v43
	v_add_f16_e32 v88, v88, v76
	v_fma_f16 v89, v80, s5, v43
	v_sub_f16_e32 v74, v76, v74
	v_sub_f16_e32 v76, v77, v78
	v_fma_f16 v43, v80, s7, v43
	v_fma_f16 v89, v79, s10, v89
	v_add_f16_e32 v74, v74, v76
	v_fma_f16 v43, v79, s4, v43
	v_fma_f16 v76, v74, s6, v89
	;; [unrolled: 1-line block ×3, first 2 shown]
	v_add_f16_e32 v43, v22, v65
	v_add_f16_e32 v43, v43, v66
	;; [unrolled: 1-line block ×6, first 2 shown]
	v_fma_f16 v43, v43, -0.5, v22
	v_sub_f16_e32 v71, v71, v75
	v_fma_f16 v75, v71, s7, v43
	v_sub_f16_e32 v72, v72, v73
	v_add_f16_e32 v88, v88, v78
	v_fma_f16 v73, v72, s10, v75
	v_sub_f16_e32 v75, v65, v66
	v_sub_f16_e32 v78, v69, v67
	v_fma_f16 v43, v71, s5, v43
	v_add_f16_e32 v75, v75, v78
	v_fma_f16 v43, v72, s4, v43
	v_fma_f16 v73, v75, s6, v73
	;; [unrolled: 1-line block ×3, first 2 shown]
	v_add_f16_e32 v43, v65, v69
	v_fma_f16 v22, v43, -0.5, v22
	v_fma_f16 v43, v72, s5, v22
	v_sub_f16_e32 v65, v66, v65
	v_sub_f16_e32 v66, v67, v69
	v_fma_f16 v43, v71, s10, v43
	v_add_f16_e32 v65, v65, v66
	v_fma_f16 v66, v65, s6, v43
	v_add_f16_e32 v43, v16, v54
	;; [unrolled: 2-line block ×5, first 2 shown]
	v_add_f16_e32 v43, v58, v59
	v_fma_f16 v43, v43, -0.5, v16
	v_sub_f16_e32 v62, v62, v70
	v_fma_f16 v67, v62, s7, v43
	v_sub_f16_e32 v64, v64, v68
	v_sub_f16_e32 v68, v54, v58
	;; [unrolled: 1-line block ×3, first 2 shown]
	v_fma_f16 v43, v62, s5, v43
	v_fma_f16 v67, v64, s10, v67
	v_add_f16_e32 v68, v68, v69
	v_fma_f16 v43, v64, s4, v43
	v_fma_f16 v67, v68, s6, v67
	;; [unrolled: 1-line block ×3, first 2 shown]
	v_add_f16_e32 v43, v54, v61
	v_fma_f16 v16, v43, -0.5, v16
	v_fma_f16 v43, v64, s5, v16
	v_sub_f16_e32 v54, v58, v54
	v_sub_f16_e32 v58, v59, v61
	v_fma_f16 v16, v64, s7, v16
	v_fma_f16 v43, v62, s10, v43
	v_add_f16_e32 v54, v54, v58
	v_fma_f16 v16, v62, s4, v16
	v_fma_f16 v58, v54, s6, v43
	;; [unrolled: 1-line block ×3, first 2 shown]
	v_add_f16_e32 v16, v14, v47
	v_add_f16_e32 v16, v16, v50
	;; [unrolled: 1-line block ×5, first 2 shown]
	v_fma_f16 v16, v16, -0.5, v14
	v_sub_f16_e32 v43, v55, v63
	v_fma_f16 v55, v43, s7, v16
	v_sub_f16_e32 v57, v57, v60
	v_sub_f16_e32 v60, v47, v50
	;; [unrolled: 1-line block ×3, first 2 shown]
	v_fma_f16 v16, v43, s5, v16
	v_fma_f16 v55, v57, s10, v55
	v_add_f16_e32 v60, v60, v61
	v_fma_f16 v16, v57, s4, v16
	v_fma_f16 v55, v60, s6, v55
	;; [unrolled: 1-line block ×3, first 2 shown]
	v_add_f16_e32 v16, v47, v53
	v_fma_f16 v14, v16, -0.5, v14
	v_fma_f16 v16, v57, s5, v14
	v_sub_f16_e32 v47, v50, v47
	v_sub_f16_e32 v50, v51, v53
	v_fma_f16 v16, v43, s10, v16
	v_add_f16_e32 v47, v47, v50
	v_fma_f16 v50, v47, s6, v16
	v_add_f16_e32 v16, v18, v42
	;; [unrolled: 2-line block ×5, first 2 shown]
	v_add_f16_e32 v16, v44, v45
	v_fma_f16 v43, v16, -0.5, v18
	v_sub_f16_e32 v48, v48, v56
	v_fma_f16 v16, v48, s7, v43
	v_sub_f16_e32 v49, v49, v52
	v_sub_f16_e32 v51, v42, v44
	;; [unrolled: 1-line block ×3, first 2 shown]
	v_fma_f16 v43, v48, s5, v43
	v_fma_f16 v16, v49, s10, v16
	v_add_f16_e32 v51, v51, v52
	v_fma_f16 v43, v49, s4, v43
	v_fma_f16 v16, v51, s6, v16
	;; [unrolled: 1-line block ×3, first 2 shown]
	v_add_f16_e32 v51, v42, v46
	v_fma_f16 v18, v51, -0.5, v18
	v_fma_f16 v51, v49, s5, v18
	v_sub_f16_e32 v42, v44, v42
	v_sub_f16_e32 v44, v45, v46
	v_fma_f16 v18, v49, s7, v18
	v_fma_f16 v51, v48, s10, v51
	v_add_f16_e32 v44, v42, v44
	v_fma_f16 v18, v48, s4, v18
	v_fma_f16 v42, v44, s6, v51
	;; [unrolled: 1-line block ×3, first 2 shown]
	s_waitcnt lgkmcnt(0)
	; wave barrier
	s_waitcnt lgkmcnt(0)
	ds_write_b16 v83, v88
	ds_write_b16 v83, v81 offset:18
	ds_write_b16 v83, v76 offset:36
	ds_write_b16 v83, v74 offset:54
	ds_write_b16 v83, v82 offset:72
	ds_write_b16 v84, v77
	ds_write_b16 v84, v73 offset:18
	ds_write_b16 v84, v66 offset:36
	ds_write_b16 v84, v22 offset:54
	ds_write_b16 v84, v75 offset:72
	;; [unrolled: 5-line block ×5, first 2 shown]
	s_waitcnt lgkmcnt(0)
	; wave barrier
	s_waitcnt lgkmcnt(0)
	ds_read_u16 v22, v1
	ds_read_u16 v18, v1 offset:126
	ds_read_u16 v47, v1 offset:576
	;; [unrolled: 1-line block ×20, first 2 shown]
                                        ; implicit-def: $vgpr45
	s_and_saveexec_b64 s[2:3], vcc
	s_cbranch_execz .LBB0_29
; %bb.28:
	ds_read_u16 v16, v1 offset:378
	ds_read_u16 v42, v1 offset:828
	;; [unrolled: 1-line block ×7, first 2 shown]
.LBB0_29:
	s_or_b64 exec, exec, s[2:3]
	v_subrev_u32_e32 v58, 45, v0
	v_cmp_gt_u32_e64 s[2:3], 45, v0
	v_cndmask_b32_e64 v94, v58, v0, s[2:3]
	v_mul_i32_i24_e32 v58, 6, v94
	v_mov_b32_e32 v59, 0
	v_lshlrev_b64 v[58:59], 2, v[58:59]
	v_mov_b32_e32 v60, s9
	v_add_co_u32_e64 v58, s[2:3], s8, v58
	v_addc_co_u32_e64 v59, s[2:3], v60, v59, s[2:3]
	s_movk_i32 s2, 0x6d
	global_load_dwordx4 v[62:65], v[58:59], off offset:168
	global_load_dwordx2 v[69:70], v[58:59], off offset:184
	v_mul_lo_u16_sdwa v59, v7, s2 dst_sel:DWORD dst_unused:UNUSED_PAD src0_sel:BYTE_0 src1_sel:DWORD
	v_sub_u16_sdwa v60, v7, v59 dst_sel:DWORD dst_unused:UNUSED_PAD src0_sel:DWORD src1_sel:BYTE_1
	v_lshrrev_b16_e32 v60, 1, v60
	v_and_b32_e32 v60, 0x7f, v60
	v_add_u16_sdwa v59, v60, v59 dst_sel:DWORD dst_unused:UNUSED_PAD src0_sel:DWORD src1_sel:BYTE_1
	v_lshrrev_b16_e32 v95, 5, v59
	v_mul_lo_u16_e32 v59, 45, v95
	v_mov_b32_e32 v58, 6
	v_sub_u16_e32 v96, v7, v59
	v_mul_u32_u24_sdwa v59, v96, v58 dst_sel:DWORD dst_unused:UNUSED_PAD src0_sel:BYTE_0 src1_sel:DWORD
	v_lshlrev_b32_e32 v59, 2, v59
	global_load_dwordx4 v[76:79], v59, s[8:9] offset:168
	global_load_dwordx2 v[88:89], v59, s[8:9] offset:184
	v_mul_lo_u16_sdwa v59, v8, s2 dst_sel:DWORD dst_unused:UNUSED_PAD src0_sel:BYTE_0 src1_sel:DWORD
	v_sub_u16_sdwa v60, v8, v59 dst_sel:DWORD dst_unused:UNUSED_PAD src0_sel:DWORD src1_sel:BYTE_1
	v_lshrrev_b16_e32 v60, 1, v60
	v_and_b32_e32 v60, 0x7f, v60
	v_add_u16_sdwa v59, v60, v59 dst_sel:DWORD dst_unused:UNUSED_PAD src0_sel:DWORD src1_sel:BYTE_1
	v_lshrrev_b16_e32 v97, 5, v59
	v_mul_lo_u16_e32 v59, 45, v97
	v_sub_u16_e32 v98, v8, v59
	v_mul_lo_u16_sdwa v59, v9, s2 dst_sel:DWORD dst_unused:UNUSED_PAD src0_sel:BYTE_0 src1_sel:DWORD
	v_sub_u16_sdwa v60, v9, v59 dst_sel:DWORD dst_unused:UNUSED_PAD src0_sel:DWORD src1_sel:BYTE_1
	v_mul_u32_u24_sdwa v58, v98, v58 dst_sel:DWORD dst_unused:UNUSED_PAD src0_sel:BYTE_0 src1_sel:DWORD
	v_lshrrev_b16_e32 v60, 1, v60
	v_lshlrev_b32_e32 v58, 2, v58
	v_and_b32_e32 v60, 0x7f, v60
	global_load_dwordx4 v[80:83], v58, s[8:9] offset:168
	global_load_dwordx2 v[90:91], v58, s[8:9] offset:184
	v_add_u16_sdwa v58, v60, v59 dst_sel:DWORD dst_unused:UNUSED_PAD src0_sel:DWORD src1_sel:BYTE_1
	v_lshrrev_b16_e32 v58, 5, v58
	v_mul_lo_u16_e32 v58, 45, v58
	v_sub_u16_e32 v58, v9, v58
	v_and_b32_e32 v99, 0xff, v58
	v_mul_u32_u24_e32 v58, 6, v99
	v_lshlrev_b32_e32 v58, 2, v58
	global_load_dwordx4 v[84:87], v58, s[8:9] offset:168
	global_load_dwordx2 v[92:93], v58, s[8:9] offset:184
	s_movk_i32 s5, 0x2b26
	s_mov_b32 s4, 0xbb00
	s_mov_b32 s6, 0xbcab
	s_movk_i32 s7, 0x39e0
	s_mov_b32 s10, 0xb9e0
	s_mov_b32 s11, 0xb574
	s_movk_i32 s15, 0x3574
	s_mov_b32 s14, 0xb70e
	v_cmp_lt_u32_e64 s[2:3], 44, v0
	s_waitcnt lgkmcnt(0)
	; wave barrier
	s_waitcnt vmcnt(7) lgkmcnt(0)
	v_mul_f16_sdwa v59, v38, v62 dst_sel:DWORD dst_unused:UNUSED_PAD src0_sel:DWORD src1_sel:WORD_1
	v_mul_f16_sdwa v60, v46, v63 dst_sel:DWORD dst_unused:UNUSED_PAD src0_sel:DWORD src1_sel:WORD_1
	;; [unrolled: 1-line block ×4, first 2 shown]
	v_fma_f16 v61, v50, v62, -v59
	v_fma_f16 v59, v36, v63, v60
	s_waitcnt vmcnt(6)
	v_mul_f16_sdwa v103, v49, v69 dst_sel:DWORD dst_unused:UNUSED_PAD src0_sel:DWORD src1_sel:WORD_1
	v_fma_f16 v58, v38, v62, v58
	v_fma_f16 v62, v46, v63, -v67
	v_mul_f16_sdwa v68, v56, v64 dst_sel:DWORD dst_unused:UNUSED_PAD src0_sel:DWORD src1_sel:WORD_1
	v_mul_f16_sdwa v104, v37, v69 dst_sel:DWORD dst_unused:UNUSED_PAD src0_sel:DWORD src1_sel:WORD_1
	v_fma_f16 v67, v37, v69, v103
	s_waitcnt vmcnt(5)
	v_mul_f16_sdwa v36, v47, v76 dst_sel:DWORD dst_unused:UNUSED_PAD src0_sel:DWORD src1_sel:WORD_1
	v_fma_f16 v46, v34, v76, v36
	v_mul_f16_sdwa v37, v34, v76 dst_sel:DWORD dst_unused:UNUSED_PAD src0_sel:DWORD src1_sel:WORD_1
	v_mul_f16_sdwa v38, v48, v77 dst_sel:DWORD dst_unused:UNUSED_PAD src0_sel:DWORD src1_sel:WORD_1
	;; [unrolled: 1-line block ×5, first 2 shown]
	v_fma_f16 v60, v41, v64, v68
	v_fma_f16 v68, v49, v69, -v104
	v_fma_f16 v49, v47, v76, -v37
	v_fma_f16 v47, v33, v77, v38
	v_mul_f16_sdwa v102, v39, v65 dst_sel:DWORD dst_unused:UNUSED_PAD src0_sel:DWORD src1_sel:WORD_1
	v_mul_f16_sdwa v106, v40, v70 dst_sel:DWORD dst_unused:UNUSED_PAD src0_sel:DWORD src1_sel:WORD_1
	v_fma_f16 v63, v56, v64, -v100
	v_fma_f16 v64, v39, v65, v101
	v_fma_f16 v69, v40, v70, v105
	v_mul_f16_sdwa v39, v33, v77 dst_sel:DWORD dst_unused:UNUSED_PAD src0_sel:DWORD src1_sel:WORD_1
	v_mul_f16_sdwa v40, v51, v78 dst_sel:DWORD dst_unused:UNUSED_PAD src0_sel:DWORD src1_sel:WORD_1
	v_fma_f16 v50, v48, v77, -v39
	v_fma_f16 v48, v32, v78, v40
	v_mul_f16_sdwa v41, v32, v78 dst_sel:DWORD dst_unused:UNUSED_PAD src0_sel:DWORD src1_sel:WORD_1
	v_fma_f16 v51, v51, v78, -v41
	v_fma_f16 v70, v54, v70, -v106
	v_mul_f16_sdwa v54, v30, v79 dst_sel:DWORD dst_unused:UNUSED_PAD src0_sel:DWORD src1_sel:WORD_1
	s_waitcnt vmcnt(1)
	v_mul_f16_sdwa v36, v42, v84 dst_sel:DWORD dst_unused:UNUSED_PAD src0_sel:DWORD src1_sel:WORD_1
	v_fma_f16 v36, v19, v84, v36
	v_mul_f16_sdwa v19, v19, v84 dst_sel:DWORD dst_unused:UNUSED_PAD src0_sel:DWORD src1_sel:WORD_1
	v_fma_f16 v38, v42, v84, -v19
	v_mul_f16_sdwa v19, v44, v85 dst_sel:DWORD dst_unused:UNUSED_PAD src0_sel:DWORD src1_sel:WORD_1
	v_fma_f16 v37, v20, v85, v19
	v_mul_f16_sdwa v19, v20, v85 dst_sel:DWORD dst_unused:UNUSED_PAD src0_sel:DWORD src1_sel:WORD_1
	v_fma_f16 v40, v44, v85, -v19
	;; [unrolled: 4-line block ×3, first 2 shown]
	v_mul_f16_sdwa v17, v11, v87 dst_sel:DWORD dst_unused:UNUSED_PAD src0_sel:DWORD src1_sel:WORD_1
	v_fma_f16 v42, v5, v87, v17
	v_mul_f16_sdwa v5, v5, v87 dst_sel:DWORD dst_unused:UNUSED_PAD src0_sel:DWORD src1_sel:WORD_1
	v_mul_f16_sdwa v56, v55, v88 dst_sel:DWORD dst_unused:UNUSED_PAD src0_sel:DWORD src1_sel:WORD_1
	v_fma_f16 v5, v11, v87, -v5
	s_waitcnt vmcnt(0)
	v_mul_f16_sdwa v11, v10, v92 dst_sel:DWORD dst_unused:UNUSED_PAD src0_sel:DWORD src1_sel:WORD_1
	v_fma_f16 v65, v52, v65, -v102
	v_mul_f16_sdwa v52, v53, v79 dst_sel:DWORD dst_unused:UNUSED_PAD src0_sel:DWORD src1_sel:WORD_1
	v_fma_f16 v53, v53, v79, -v54
	v_fma_f16 v54, v29, v88, v56
	v_mul_f16_sdwa v29, v29, v88 dst_sel:DWORD dst_unused:UNUSED_PAD src0_sel:DWORD src1_sel:WORD_1
	v_fma_f16 v43, v4, v92, v11
	v_mul_f16_sdwa v4, v4, v92 dst_sel:DWORD dst_unused:UNUSED_PAD src0_sel:DWORD src1_sel:WORD_1
	v_fma_f16 v55, v55, v88, -v29
	v_mul_f16_sdwa v29, v57, v89 dst_sel:DWORD dst_unused:UNUSED_PAD src0_sel:DWORD src1_sel:WORD_1
	v_fma_f16 v4, v10, v92, -v4
	v_mul_f16_sdwa v10, v45, v93 dst_sel:DWORD dst_unused:UNUSED_PAD src0_sel:DWORD src1_sel:WORD_1
	v_fma_f16 v56, v35, v89, v29
	v_mul_f16_sdwa v29, v35, v89 dst_sel:DWORD dst_unused:UNUSED_PAD src0_sel:DWORD src1_sel:WORD_1
	v_mul_f16_sdwa v35, v66, v91 dst_sel:DWORD dst_unused:UNUSED_PAD src0_sel:DWORD src1_sel:WORD_1
	v_fma_f16 v44, v23, v93, v10
	v_mul_f16_sdwa v10, v23, v93 dst_sel:DWORD dst_unused:UNUSED_PAD src0_sel:DWORD src1_sel:WORD_1
	v_fma_f16 v57, v57, v89, -v29
	v_mul_f16_sdwa v29, v73, v80 dst_sel:DWORD dst_unused:UNUSED_PAD src0_sel:DWORD src1_sel:WORD_1
	v_mul_f16_sdwa v33, v71, v83 dst_sel:DWORD dst_unused:UNUSED_PAD src0_sel:DWORD src1_sel:WORD_1
	;; [unrolled: 1-line block ×3, first 2 shown]
	v_fma_f16 v35, v24, v91, v35
	v_mul_f16_sdwa v24, v24, v91 dst_sel:DWORD dst_unused:UNUSED_PAD src0_sel:DWORD src1_sel:WORD_1
	v_fma_f16 v45, v45, v93, -v10
	v_add_f16_e32 v10, v58, v69
	v_add_f16_e32 v17, v59, v67
	v_fma_f16 v29, v27, v80, v29
	v_mul_f16_sdwa v27, v27, v80 dst_sel:DWORD dst_unused:UNUSED_PAD src0_sel:DWORD src1_sel:WORD_1
	v_fma_f16 v33, v25, v83, v33
	v_mul_f16_sdwa v25, v25, v83 dst_sel:DWORD dst_unused:UNUSED_PAD src0_sel:DWORD src1_sel:WORD_1
	;; [unrolled: 2-line block ×3, first 2 shown]
	v_fma_f16 v24, v66, v91, -v24
	v_sub_f16_e32 v11, v61, v70
	v_sub_f16_e32 v19, v62, v68
	v_add_f16_e32 v20, v60, v64
	v_sub_f16_e32 v23, v65, v63
	v_add_f16_e32 v66, v17, v10
	v_fma_f16 v52, v30, v79, v52
	v_fma_f16 v30, v73, v80, -v27
	v_fma_f16 v25, v71, v83, -v25
	;; [unrolled: 1-line block ×3, first 2 shown]
	v_sub_f16_e32 v71, v17, v10
	v_sub_f16_e32 v10, v10, v20
	;; [unrolled: 1-line block ×3, first 2 shown]
	v_add_f16_e32 v72, v23, v19
	v_sub_f16_e32 v73, v23, v19
	v_sub_f16_e32 v19, v19, v11
	v_add_f16_e32 v20, v20, v66
	v_mul_f16_sdwa v27, v75, v81 dst_sel:DWORD dst_unused:UNUSED_PAD src0_sel:DWORD src1_sel:WORD_1
	v_sub_f16_e32 v23, v11, v23
	v_add_f16_e32 v11, v72, v11
	v_add_f16_e32 v21, v21, v20
	v_mul_f16_e32 v10, 0x3a52, v10
	v_mul_f16_e32 v66, 0x2b26, v17
	;; [unrolled: 1-line block ×4, first 2 shown]
	v_fma_f16 v27, v31, v81, v27
	v_mul_f16_sdwa v31, v31, v81 dst_sel:DWORD dst_unused:UNUSED_PAD src0_sel:DWORD src1_sel:WORD_1
	v_fma_f16 v20, v20, s6, v21
	v_fma_f16 v17, v17, s5, v10
	v_fma_f16 v66, v71, s7, -v66
	v_fma_f16 v10, v71, s10, -v10
	v_fma_f16 v71, v23, s11, v72
	v_fma_f16 v19, v19, s4, -v72
	v_fma_f16 v23, v23, s15, -v73
	v_fma_f16 v32, v75, v81, -v31
	v_mul_f16_sdwa v31, v74, v82 dst_sel:DWORD dst_unused:UNUSED_PAD src0_sel:DWORD src1_sel:WORD_1
	v_add_f16_e32 v17, v17, v20
	v_add_f16_e32 v66, v66, v20
	;; [unrolled: 1-line block ×3, first 2 shown]
	v_fma_f16 v20, v11, s14, v71
	v_fma_f16 v19, v11, s14, v19
	;; [unrolled: 1-line block ×4, first 2 shown]
	v_mul_f16_sdwa v28, v28, v82 dst_sel:DWORD dst_unused:UNUSED_PAD src0_sel:DWORD src1_sel:WORD_1
	v_add_f16_e32 v23, v20, v17
	v_add_f16_e32 v72, v11, v10
	v_sub_f16_e32 v73, v66, v19
	v_add_f16_e32 v19, v19, v66
	v_sub_f16_e32 v10, v10, v11
	v_sub_f16_e32 v11, v17, v20
	v_add_f16_e32 v17, v46, v56
	v_add_f16_e32 v66, v47, v54
	v_fma_f16 v28, v74, v82, -v28
	v_sub_f16_e32 v20, v49, v57
	v_sub_f16_e32 v71, v50, v55
	v_add_f16_e32 v74, v48, v52
	v_sub_f16_e32 v75, v53, v51
	v_add_f16_e32 v76, v66, v17
	v_sub_f16_e32 v77, v66, v17
	v_sub_f16_e32 v17, v17, v74
	;; [unrolled: 1-line block ×3, first 2 shown]
	v_add_f16_e32 v78, v75, v71
	v_sub_f16_e32 v79, v75, v71
	v_sub_f16_e32 v71, v71, v20
	v_add_f16_e32 v74, v74, v76
	v_sub_f16_e32 v75, v20, v75
	v_add_f16_e32 v20, v78, v20
	v_add_f16_e32 v15, v15, v74
	v_mul_f16_e32 v17, 0x3a52, v17
	v_mul_f16_e32 v76, 0x2b26, v66
	;; [unrolled: 1-line block ×4, first 2 shown]
	v_fma_f16 v74, v74, s6, v15
	v_fma_f16 v66, v66, s5, v17
	v_fma_f16 v76, v77, s7, -v76
	v_fma_f16 v17, v77, s10, -v17
	v_fma_f16 v77, v75, s11, v78
	v_fma_f16 v71, v71, s4, -v78
	v_fma_f16 v75, v75, s15, -v79
	v_add_f16_e32 v66, v66, v74
	v_add_f16_e32 v76, v76, v74
	;; [unrolled: 1-line block ×3, first 2 shown]
	v_fma_f16 v74, v20, s14, v77
	v_fma_f16 v71, v20, s14, v71
	;; [unrolled: 1-line block ×3, first 2 shown]
	v_add_f16_e32 v75, v74, v66
	v_add_f16_e32 v77, v20, v17
	v_sub_f16_e32 v17, v17, v20
	v_sub_f16_e32 v20, v66, v74
	v_add_f16_e32 v66, v29, v35
	v_add_f16_e32 v74, v27, v34
	v_sub_f16_e32 v78, v76, v71
	v_add_f16_e32 v76, v71, v76
	v_sub_f16_e32 v71, v30, v24
	v_sub_f16_e32 v79, v32, v26
	v_add_f16_e32 v80, v31, v33
	v_sub_f16_e32 v81, v25, v28
	v_add_f16_e32 v82, v74, v66
	v_sub_f16_e32 v83, v74, v66
	v_sub_f16_e32 v66, v66, v80
	;; [unrolled: 1-line block ×3, first 2 shown]
	v_add_f16_e32 v84, v81, v79
	v_sub_f16_e32 v85, v81, v79
	v_sub_f16_e32 v79, v79, v71
	v_add_f16_e32 v80, v80, v82
	v_sub_f16_e32 v81, v71, v81
	v_add_f16_e32 v71, v84, v71
	v_add_f16_e32 v13, v13, v80
	v_mul_f16_e32 v66, 0x3a52, v66
	v_mul_f16_e32 v82, 0x2b26, v74
	v_mul_f16_e32 v84, 0x3846, v85
	v_mul_f16_e32 v85, 0xbb00, v79
	v_fma_f16 v80, v80, s6, v13
	v_fma_f16 v74, v74, s5, v66
	v_fma_f16 v82, v83, s7, -v82
	v_fma_f16 v66, v83, s10, -v66
	v_fma_f16 v83, v81, s11, v84
	v_fma_f16 v79, v79, s4, -v84
	v_fma_f16 v81, v81, s15, -v85
	v_add_f16_e32 v74, v74, v80
	v_add_f16_e32 v82, v82, v80
	;; [unrolled: 1-line block ×3, first 2 shown]
	v_fma_f16 v80, v71, s14, v83
	v_fma_f16 v79, v71, s14, v79
	;; [unrolled: 1-line block ×3, first 2 shown]
	v_add_f16_e32 v83, v71, v66
	v_sub_f16_e32 v66, v66, v71
	v_mov_b32_e32 v71, 0x276
	v_add_f16_e32 v81, v80, v74
	v_sub_f16_e32 v74, v74, v80
	v_cndmask_b32_e64 v71, 0, v71, s[2:3]
	v_lshlrev_b32_e32 v80, 1, v94
	v_add3_u32 v71, 0, v71, v80
	ds_write_b16 v71, v21
	ds_write_b16 v71, v23 offset:90
	ds_write_b16 v71, v72 offset:180
	;; [unrolled: 1-line block ×6, first 2 shown]
	v_mov_b32_e32 v11, 1
	v_mul_u32_u24_e32 v10, 0x276, v95
	v_lshlrev_b32_sdwa v19, v11, v96 dst_sel:DWORD dst_unused:UNUSED_PAD src0_sel:DWORD src1_sel:BYTE_0
	v_add3_u32 v72, 0, v10, v19
	v_mul_u32_u24_e32 v10, 0x276, v97
	v_lshlrev_b32_sdwa v11, v11, v98 dst_sel:DWORD dst_unused:UNUSED_PAD src0_sel:DWORD src1_sel:BYTE_0
	v_add3_u32 v73, 0, v10, v11
	v_sub_f16_e32 v84, v82, v79
	v_add_f16_e32 v79, v79, v82
	ds_write_b16 v72, v15
	ds_write_b16 v72, v75 offset:90
	ds_write_b16 v72, v77 offset:180
	;; [unrolled: 1-line block ×6, first 2 shown]
	ds_write_b16 v73, v13
	ds_write_b16 v73, v81 offset:90
	ds_write_b16 v73, v83 offset:180
	;; [unrolled: 1-line block ×6, first 2 shown]
	v_lshl_add_u32 v66, v99, 1, 0
	s_and_saveexec_b64 s[2:3], vcc
	s_cbranch_execz .LBB0_31
; %bb.30:
	v_add_f16_e32 v10, v36, v44
	v_add_f16_e32 v15, v37, v43
	;; [unrolled: 1-line block ×4, first 2 shown]
	v_sub_f16_e32 v13, v10, v11
	v_sub_f16_e32 v17, v11, v15
	v_add_f16_e32 v11, v11, v20
	v_sub_f16_e32 v20, v38, v45
	v_sub_f16_e32 v21, v5, v41
	v_sub_f16_e32 v74, v40, v4
	v_sub_f16_e32 v23, v20, v21
	v_sub_f16_e32 v75, v21, v74
	v_add_f16_e32 v21, v21, v74
	v_sub_f16_e32 v10, v15, v10
	v_sub_f16_e32 v15, v74, v20
	v_mul_f16_e32 v13, 0x3a52, v13
	v_mul_f16_e32 v19, 0x2b26, v17
	v_add_f16_e32 v12, v12, v11
	v_mul_f16_e32 v75, 0x3846, v75
	v_add_f16_e32 v21, v21, v20
	v_mul_f16_e32 v20, 0xbb00, v15
	v_fma_f16 v17, v17, s5, v13
	v_fma_f16 v11, v11, s6, v12
	;; [unrolled: 1-line block ×3, first 2 shown]
	v_fma_f16 v13, v10, s10, -v13
	v_fma_f16 v20, v23, s15, -v20
	;; [unrolled: 1-line block ×4, first 2 shown]
	v_add_f16_e32 v17, v17, v11
	v_fma_f16 v76, v21, s14, v76
	v_add_f16_e32 v13, v13, v11
	v_fma_f16 v20, v21, s14, v20
	v_fma_f16 v15, v21, s14, v15
	v_add_f16_e32 v10, v10, v11
	v_sub_f16_e32 v77, v17, v76
	v_sub_f16_e32 v23, v13, v20
	v_add_f16_e32 v11, v15, v10
	v_sub_f16_e32 v10, v10, v15
	v_add_f16_e32 v13, v20, v13
	v_add_f16_e32 v15, v76, v17
	ds_write_b16 v66, v12 offset:2520
	ds_write_b16 v66, v15 offset:2610
	;; [unrolled: 1-line block ×7, first 2 shown]
.LBB0_31:
	s_or_b64 exec, exec, s[2:3]
	v_add_f16_e32 v10, v61, v70
	v_add_f16_e32 v12, v62, v68
	v_sub_f16_e32 v11, v58, v69
	v_sub_f16_e32 v13, v59, v67
	v_add_f16_e32 v15, v63, v65
	v_sub_f16_e32 v17, v64, v60
	v_add_f16_e32 v19, v12, v10
	v_sub_f16_e32 v20, v12, v10
	v_sub_f16_e32 v10, v10, v15
	;; [unrolled: 1-line block ×3, first 2 shown]
	v_add_f16_e32 v21, v17, v13
	v_sub_f16_e32 v23, v17, v13
	v_sub_f16_e32 v13, v13, v11
	v_add_f16_e32 v15, v15, v19
	v_sub_f16_e32 v17, v11, v17
	v_add_f16_e32 v11, v21, v11
	v_add_f16_e32 v58, v22, v15
	v_mul_f16_e32 v10, 0x3a52, v10
	v_mul_f16_e32 v19, 0x2b26, v12
	;; [unrolled: 1-line block ×4, first 2 shown]
	v_fma_f16 v15, v15, s6, v58
	v_fma_f16 v12, v12, s5, v10
	v_fma_f16 v19, v20, s7, -v19
	v_fma_f16 v10, v20, s10, -v10
	v_fma_f16 v20, v17, s11, v21
	v_fma_f16 v13, v13, s4, -v21
	v_fma_f16 v17, v17, s15, -v22
	v_add_f16_e32 v12, v12, v15
	v_add_f16_e32 v19, v19, v15
	;; [unrolled: 1-line block ×3, first 2 shown]
	v_fma_f16 v15, v11, s14, v20
	v_fma_f16 v13, v11, s14, v13
	;; [unrolled: 1-line block ×3, first 2 shown]
	v_sub_f16_e32 v59, v12, v15
	v_sub_f16_e32 v60, v10, v11
	v_add_f16_e32 v63, v11, v10
	v_add_f16_e32 v64, v15, v12
	;; [unrolled: 1-line block ×5, first 2 shown]
	v_sub_f16_e32 v62, v19, v13
	v_sub_f16_e32 v11, v46, v56
	;; [unrolled: 1-line block ×3, first 2 shown]
	v_add_f16_e32 v15, v51, v53
	v_sub_f16_e32 v17, v52, v48
	v_add_f16_e32 v19, v12, v10
	v_sub_f16_e32 v20, v12, v10
	v_sub_f16_e32 v10, v10, v15
	;; [unrolled: 1-line block ×3, first 2 shown]
	v_add_f16_e32 v21, v17, v13
	v_sub_f16_e32 v22, v17, v13
	v_sub_f16_e32 v13, v13, v11
	v_add_f16_e32 v15, v15, v19
	v_sub_f16_e32 v17, v11, v17
	v_add_f16_e32 v11, v21, v11
	v_add_f16_e32 v46, v18, v15
	v_mul_f16_e32 v10, 0x3a52, v10
	v_mul_f16_e32 v18, 0x2b26, v12
	;; [unrolled: 1-line block ×4, first 2 shown]
	v_fma_f16 v15, v15, s6, v46
	v_fma_f16 v12, v12, s5, v10
	v_fma_f16 v18, v20, s7, -v18
	v_fma_f16 v10, v20, s10, -v10
	v_fma_f16 v20, v17, s11, v19
	v_fma_f16 v13, v13, s4, -v19
	v_fma_f16 v17, v17, s15, -v21
	v_add_f16_e32 v12, v12, v15
	v_add_f16_e32 v18, v18, v15
	v_add_f16_e32 v10, v10, v15
	v_fma_f16 v15, v11, s14, v20
	v_fma_f16 v13, v11, s14, v13
	;; [unrolled: 1-line block ×3, first 2 shown]
	v_sub_f16_e32 v47, v12, v15
	v_sub_f16_e32 v48, v10, v11
	v_add_f16_e32 v51, v11, v10
	v_add_f16_e32 v52, v15, v12
	;; [unrolled: 1-line block ×5, first 2 shown]
	v_sub_f16_e32 v50, v18, v13
	v_sub_f16_e32 v11, v29, v35
	;; [unrolled: 1-line block ×3, first 2 shown]
	v_add_f16_e32 v15, v28, v25
	v_sub_f16_e32 v17, v33, v31
	v_add_f16_e32 v18, v12, v10
	v_sub_f16_e32 v19, v12, v10
	v_sub_f16_e32 v10, v10, v15
	;; [unrolled: 1-line block ×3, first 2 shown]
	v_add_f16_e32 v20, v17, v13
	v_sub_f16_e32 v21, v17, v13
	v_sub_f16_e32 v13, v13, v11
	v_add_f16_e32 v15, v15, v18
	v_sub_f16_e32 v17, v11, v17
	v_add_f16_e32 v11, v20, v11
	v_add_f16_e32 v53, v14, v15
	v_mul_f16_e32 v10, 0x3a52, v10
	v_mul_f16_e32 v14, 0x2b26, v12
	;; [unrolled: 1-line block ×4, first 2 shown]
	v_fma_f16 v15, v15, s6, v53
	v_fma_f16 v12, v12, s5, v10
	v_fma_f16 v14, v19, s7, -v14
	v_fma_f16 v10, v19, s10, -v10
	v_fma_f16 v19, v17, s11, v18
	v_fma_f16 v13, v13, s4, -v18
	v_fma_f16 v17, v17, s15, -v20
	v_add_f16_e32 v12, v12, v15
	v_add_f16_e32 v14, v14, v15
	;; [unrolled: 1-line block ×3, first 2 shown]
	v_fma_f16 v15, v11, s14, v19
	v_fma_f16 v13, v11, s14, v13
	;; [unrolled: 1-line block ×3, first 2 shown]
	v_sub_f16_e32 v54, v12, v15
	v_sub_f16_e32 v55, v10, v11
	v_add_f16_e32 v56, v13, v14
	v_sub_f16_e32 v57, v14, v13
	v_add_f16_e32 v65, v11, v10
	v_add_f16_e32 v67, v15, v12
	s_waitcnt lgkmcnt(0)
	; wave barrier
	s_waitcnt lgkmcnt(0)
	ds_read_u16 v17, v1 offset:756
	ds_read_u16 v22, v1 offset:882
	ds_read_u16 v10, v1
	ds_read_u16 v14, v1 offset:126
	ds_read_u16 v21, v1 offset:252
	;; [unrolled: 1-line block ×22, first 2 shown]
	s_waitcnt lgkmcnt(0)
	; wave barrier
	s_waitcnt lgkmcnt(0)
	ds_write_b16 v71, v58
	ds_write_b16 v71, v59 offset:90
	ds_write_b16 v71, v60 offset:180
	ds_write_b16 v71, v61 offset:270
	ds_write_b16 v71, v62 offset:360
	ds_write_b16 v71, v63 offset:450
	ds_write_b16 v71, v64 offset:540
	ds_write_b16 v72, v46
	ds_write_b16 v72, v47 offset:90
	ds_write_b16 v72, v48 offset:180
	ds_write_b16 v72, v49 offset:270
	ds_write_b16 v72, v50 offset:360
	ds_write_b16 v72, v51 offset:450
	ds_write_b16 v72, v52 offset:540
	;; [unrolled: 7-line block ×3, first 2 shown]
	s_and_saveexec_b64 s[2:3], vcc
	s_cbranch_execz .LBB0_33
; %bb.32:
	v_add_f16_e32 v38, v38, v45
	v_add_f16_e32 v4, v40, v4
	;; [unrolled: 1-line block ×4, first 2 shown]
	v_sub_f16_e32 v41, v4, v38
	v_sub_f16_e32 v38, v38, v5
	;; [unrolled: 1-line block ×3, first 2 shown]
	v_mul_f16_e32 v38, 0x3a52, v38
	s_movk_i32 s4, 0x2b26
	v_sub_f16_e32 v37, v37, v43
	v_sub_f16_e32 v39, v42, v39
	v_add_f16_e32 v5, v5, v40
	v_mul_f16_e32 v40, 0x2b26, v4
	v_fma_f16 v4, v4, s4, v38
	s_movk_i32 s4, 0x39e0
	v_sub_f16_e32 v36, v36, v44
	v_add_f16_e32 v42, v39, v37
	v_sub_f16_e32 v43, v39, v37
	v_fma_f16 v40, v41, s4, -v40
	s_mov_b32 s4, 0xb9e0
	v_sub_f16_e32 v39, v36, v39
	v_sub_f16_e32 v37, v37, v36
	v_add_f16_e32 v36, v42, v36
	v_mul_f16_e32 v42, 0x3846, v43
	v_fma_f16 v38, v41, s4, -v38
	s_mov_b32 s4, 0xb574
	v_add_f16_e32 v16, v16, v5
	s_mov_b32 s5, 0xbb00
	v_mul_f16_e32 v43, 0xbb00, v37
	v_fma_f16 v41, v39, s4, v42
	s_movk_i32 s4, 0x3574
	v_fma_f16 v5, v5, s6, v16
	v_fma_f16 v37, v37, s5, -v42
	v_fma_f16 v39, v39, s4, -v43
	s_mov_b32 s4, 0xb70e
	v_add_f16_e32 v4, v4, v5
	v_add_f16_e32 v40, v40, v5
	;; [unrolled: 1-line block ×3, first 2 shown]
	v_fma_f16 v38, v36, s4, v41
	v_fma_f16 v37, v36, s4, v37
	;; [unrolled: 1-line block ×3, first 2 shown]
	v_sub_f16_e32 v39, v4, v38
	v_sub_f16_e32 v41, v5, v36
	v_add_f16_e32 v42, v37, v40
	v_sub_f16_e32 v37, v40, v37
	v_add_f16_e32 v5, v36, v5
	v_add_f16_e32 v4, v38, v4
	ds_write_b16 v66, v16 offset:2520
	ds_write_b16 v66, v39 offset:2610
	;; [unrolled: 1-line block ×7, first 2 shown]
.LBB0_33:
	s_or_b64 exec, exec, s[2:3]
	s_waitcnt lgkmcnt(0)
	; wave barrier
	s_waitcnt lgkmcnt(0)
	s_and_saveexec_b64 s[2:3], s[0:1]
	s_cbranch_execz .LBB0_35
; %bb.34:
	v_lshlrev_b32_e32 v4, 2, v6
	v_mov_b32_e32 v5, 0
	v_lshlrev_b64 v[36:37], 2, v[4:5]
	v_mov_b32_e32 v16, s9
	v_add_co_u32_e32 v36, vcc, s8, v36
	v_addc_co_u32_e32 v37, vcc, v16, v37, vcc
	global_load_dwordx4 v[36:39], v[36:37], off offset:1248
	v_lshlrev_b32_e32 v4, 2, v9
	v_lshlrev_b64 v[40:41], 2, v[4:5]
	ds_read_u16 v44, v1 offset:3024
	v_add_co_u32_e32 v40, vcc, s8, v40
	v_addc_co_u32_e32 v41, vcc, v16, v41, vcc
	ds_read_u16 v45, v1 offset:1890
	ds_read_u16 v46, v1 offset:1764
	;; [unrolled: 1-line block ×12, first 2 shown]
	global_load_dwordx4 v[40:43], v[40:41], off offset:1248
	ds_read_u16 v4, v1 offset:2394
	ds_read_u16 v57, v1 offset:2268
	;; [unrolled: 1-line block ×7, first 2 shown]
	s_movk_i32 s0, 0x3b9c
	s_mov_b32 s3, 0xbb9c
	s_mov_b32 s2, 0xb8b4
	s_movk_i32 s4, 0x38b4
	s_movk_i32 s1, 0x34f2
	s_waitcnt vmcnt(1)
	v_mul_f16_sdwa v62, v33, v37 dst_sel:DWORD dst_unused:UNUSED_PAD src0_sel:DWORD src1_sel:WORD_1
	v_mul_f16_sdwa v63, v32, v36 dst_sel:DWORD dst_unused:UNUSED_PAD src0_sel:DWORD src1_sel:WORD_1
	;; [unrolled: 1-line block ×4, first 2 shown]
	s_waitcnt lgkmcnt(14)
	v_mul_f16_sdwa v66, v46, v37 dst_sel:DWORD dst_unused:UNUSED_PAD src0_sel:DWORD src1_sel:WORD_1
	s_waitcnt lgkmcnt(6)
	v_mul_f16_sdwa v67, v4, v38 dst_sel:DWORD dst_unused:UNUSED_PAD src0_sel:DWORD src1_sel:WORD_1
	v_mul_f16_sdwa v68, v51, v36 dst_sel:DWORD dst_unused:UNUSED_PAD src0_sel:DWORD src1_sel:WORD_1
	;; [unrolled: 1-line block ×3, first 2 shown]
	v_fma_f16 v46, v37, v46, -v62
	v_fma_f16 v51, v36, v51, -v63
	;; [unrolled: 1-line block ×4, first 2 shown]
	v_fma_f16 v33, v33, v37, v66
	v_fma_f16 v35, v35, v38, v67
	;; [unrolled: 1-line block ×4, first 2 shown]
	v_sub_f16_e32 v36, v46, v51
	v_sub_f16_e32 v37, v4, v44
	v_add_f16_e32 v39, v51, v44
	v_sub_f16_e32 v63, v33, v32
	v_sub_f16_e32 v64, v35, v34
	v_add_f16_e32 v66, v32, v34
	v_add_f16_e32 v70, v46, v4
	v_sub_f16_e32 v38, v33, v35
	v_sub_f16_e32 v62, v32, v34
	;; [unrolled: 1-line block ×5, first 2 shown]
	v_add_f16_e32 v36, v36, v37
	s_waitcnt lgkmcnt(1)
	v_fma_f16 v37, v39, -0.5, v9
	v_add_f16_e32 v39, v63, v64
	v_fma_f16 v63, v66, -0.5, v31
	v_fma_f16 v66, v70, -0.5, v9
	v_sub_f16_e32 v65, v51, v44
	v_add_f16_e32 v64, v68, v69
	v_fma_f16 v68, v38, s0, v37
	v_fma_f16 v69, v67, s3, v63
	;; [unrolled: 1-line block ×15, first 2 shown]
	v_sub_f16_e32 v63, v32, v33
	v_sub_f16_e32 v70, v34, v35
	v_add_f16_e32 v9, v51, v9
	v_add_f16_e32 v63, v63, v70
	;; [unrolled: 1-line block ×4, first 2 shown]
	v_fma_f16 v70, v70, -0.5, v31
	v_add_f16_e32 v4, v4, v9
	v_add_f16_e32 v44, v44, v4
	v_fma_f16 v4, v65, s0, v70
	v_fma_f16 v4, v67, s4, v4
	;; [unrolled: 1-line block ×3, first 2 shown]
	v_add_f16_e32 v4, v31, v32
	v_add_f16_e32 v4, v33, v4
	;; [unrolled: 1-line block ×4, first 2 shown]
	s_waitcnt vmcnt(0)
	v_mul_f16_sdwa v4, v29, v41 dst_sel:DWORD dst_unused:UNUSED_PAD src0_sel:DWORD src1_sel:WORD_1
	v_fma_f16 v51, v41, v47, -v4
	v_lshlrev_b32_e32 v4, 2, v8
	v_lshlrev_b64 v[8:9], 2, v[4:5]
	v_mul_f16_sdwa v4, v27, v40 dst_sel:DWORD dst_unused:UNUSED_PAD src0_sel:DWORD src1_sel:WORD_1
	v_add_co_u32_e32 v8, vcc, s8, v8
	v_addc_co_u32_e32 v9, vcc, v16, v9, vcc
	global_load_dwordx4 v[31:34], v[8:9], off offset:1248
	v_fma_f16 v71, v65, s3, v70
	v_fma_f16 v4, v40, v52, -v4
	v_mul_f16_sdwa v47, v47, v41 dst_sel:DWORD dst_unused:UNUSED_PAD src0_sel:DWORD src1_sel:WORD_1
	v_mul_f16_sdwa v52, v52, v40 dst_sel:DWORD dst_unused:UNUSED_PAD src0_sel:DWORD src1_sel:WORD_1
	v_fma_f16 v71, v67, s2, v71
	v_fma_f16 v29, v29, v41, v47
	v_mul_f16_sdwa v41, v57, v42 dst_sel:DWORD dst_unused:UNUSED_PAD src0_sel:DWORD src1_sel:WORD_1
	v_fma_f16 v27, v27, v40, v52
	v_mul_f16_sdwa v40, v53, v43 dst_sel:DWORD dst_unused:UNUSED_PAD src0_sel:DWORD src1_sel:WORD_1
	;; [unrolled: 2-line block ×3, first 2 shown]
	v_mul_f16_sdwa v63, v28, v43 dst_sel:DWORD dst_unused:UNUSED_PAD src0_sel:DWORD src1_sel:WORD_1
	v_fma_f16 v30, v30, v42, v41
	v_fma_f16 v28, v28, v43, v40
	v_fma_f16 v63, v43, v53, -v63
	v_sub_f16_e32 v52, v29, v27
	v_sub_f16_e32 v53, v30, v28
	v_fma_f16 v62, v62, s3, v66
	v_sub_f16_e32 v8, v51, v4
	v_fma_f16 v9, v42, v57, -v9
	v_add_f16_e32 v42, v4, v63
	v_add_f16_e32 v52, v52, v53
	v_sub_f16_e32 v53, v4, v63
	v_sub_f16_e32 v66, v4, v51
	s_waitcnt lgkmcnt(0)
	v_add_f16_e32 v4, v4, v61
	v_fma_f16 v38, v38, s2, v62
	v_add_f16_e32 v4, v51, v4
	v_fma_f16 v38, v64, s1, v38
	v_sub_f16_e32 v64, v9, v63
	v_sub_f16_e32 v67, v63, v9
	v_add_f16_e32 v4, v9, v4
	v_add_f16_e32 v8, v8, v64
	v_sub_f16_e32 v64, v51, v9
	v_add_f16_e32 v66, v66, v67
	v_add_f16_e32 v67, v51, v9
	v_add_f16_e32 v9, v63, v4
	v_add_f16_e32 v4, v26, v27
	v_add_f16_e32 v4, v29, v4
	v_sub_f16_e32 v41, v29, v30
	v_fma_f16 v42, v42, -0.5, v61
	v_sub_f16_e32 v72, v27, v29
	v_sub_f16_e32 v73, v28, v30
	v_add_f16_e32 v4, v4, v30
	v_sub_f16_e32 v40, v27, v28
	v_add_f16_e32 v72, v72, v73
	v_add_f16_e32 v73, v29, v30
	;; [unrolled: 1-line block ×3, first 2 shown]
	v_fma_f16 v4, v41, s3, v42
	v_fma_f16 v57, v41, s0, v42
	v_fma_f16 v67, v67, -0.5, v61
	v_fma_f16 v4, v40, s4, v4
	v_fma_f16 v43, v40, s2, v57
	v_add_f16_e32 v57, v27, v28
	v_fma_f16 v42, v8, s1, v4
	v_fma_f16 v4, v40, s3, v67
	v_fma_f16 v57, v57, -0.5, v26
	v_fma_f16 v4, v41, s2, v4
	v_fma_f16 v70, v40, s0, v67
	;; [unrolled: 1-line block ×4, first 2 shown]
	v_fma_f16 v73, v73, -0.5, v26
	v_fma_f16 v4, v53, s2, v4
	v_fma_f16 v70, v41, s4, v70
	;; [unrolled: 1-line block ×6, first 2 shown]
	v_lshlrev_b32_e32 v4, 2, v7
	ds_read_u16 v62, v1 offset:2142
	v_fma_f16 v43, v8, s1, v43
	v_lshlrev_b64 v[7:8], 2, v[4:5]
	v_fma_f16 v65, v64, s3, v57
	ds_read_u16 v57, v1 offset:2016
	v_add_co_u32_e32 v7, vcc, s8, v7
	ds_read_u16 v47, v1 offset:252
	v_fma_f16 v65, v53, s4, v65
	v_addc_co_u32_e32 v8, vcc, v16, v8, vcc
	v_fma_f16 v65, v52, s1, v65
	v_fma_f16 v74, v53, s3, v73
	global_load_dwordx4 v[26:29], v[7:8], off offset:1248
	s_waitcnt vmcnt(1)
	v_mul_f16_sdwa v4, v22, v31 dst_sel:DWORD dst_unused:UNUSED_PAD src0_sel:DWORD src1_sel:WORD_1
	v_mul_f16_sdwa v7, v23, v32 dst_sel:DWORD dst_unused:UNUSED_PAD src0_sel:DWORD src1_sel:WORD_1
	;; [unrolled: 1-line block ×4, first 2 shown]
	v_fma_f16 v4, v31, v58, -v4
	v_fma_f16 v7, v32, v48, -v7
	v_fma_f16 v52, v34, v54, -v52
	s_waitcnt lgkmcnt(2)
	v_fma_f16 v53, v33, v62, -v53
	v_mul_f16_sdwa v58, v58, v31 dst_sel:DWORD dst_unused:UNUSED_PAD src0_sel:DWORD src1_sel:WORD_1
	v_sub_f16_e32 v8, v4, v7
	v_sub_f16_e32 v61, v52, v53
	v_fma_f16 v31, v22, v31, v58
	v_mul_f16_sdwa v22, v54, v34 dst_sel:DWORD dst_unused:UNUSED_PAD src0_sel:DWORD src1_sel:WORD_1
	v_mul_f16_sdwa v48, v48, v32 dst_sel:DWORD dst_unused:UNUSED_PAD src0_sel:DWORD src1_sel:WORD_1
	v_add_f16_e32 v8, v8, v61
	v_add_f16_e32 v61, v7, v53
	v_fma_f16 v34, v25, v34, v22
	v_fma_f16 v32, v23, v32, v48
	v_mul_f16_sdwa v23, v62, v33 dst_sel:DWORD dst_unused:UNUSED_PAD src0_sel:DWORD src1_sel:WORD_1
	ds_read_u16 v63, v1 offset:126
	s_waitcnt lgkmcnt(1)
	v_fma_f16 v61, v61, -0.5, v47
	v_sub_f16_e32 v22, v31, v34
	v_fma_f16 v33, v24, v33, v23
	v_fma_f16 v25, v22, s3, v61
	v_sub_f16_e32 v23, v32, v33
	v_fma_f16 v24, v23, s2, v25
	v_fma_f16 v48, v8, s1, v24
	v_sub_f16_e32 v24, v31, v32
	v_sub_f16_e32 v25, v34, v33
	v_add_f16_e32 v24, v24, v25
	v_add_f16_e32 v25, v32, v33
	v_fma_f16 v61, v22, s0, v61
	v_fma_f16 v25, v25, -0.5, v21
	v_sub_f16_e32 v54, v4, v52
	v_fma_f16 v61, v23, s4, v61
	v_fma_f16 v58, v54, s0, v25
	v_sub_f16_e32 v62, v7, v53
	v_fma_f16 v61, v8, s1, v61
	v_fma_f16 v8, v54, s3, v25
	;; [unrolled: 1-line block ×7, first 2 shown]
	v_sub_f16_e32 v8, v7, v4
	v_sub_f16_e32 v24, v53, v52
	v_add_f16_e32 v8, v8, v24
	v_add_f16_e32 v24, v4, v52
	;; [unrolled: 1-line block ×5, first 2 shown]
	v_fma_f16 v24, v24, -0.5, v47
	v_add_f16_e32 v47, v52, v4
	v_sub_f16_e32 v4, v32, v31
	v_sub_f16_e32 v7, v33, v34
	v_add_f16_e32 v52, v4, v7
	v_add_f16_e32 v4, v31, v34
	v_fma_f16 v4, v4, -0.5, v21
	v_fma_f16 v25, v23, s0, v24
	v_fma_f16 v23, v23, s3, v24
	;; [unrolled: 1-line block ×7, first 2 shown]
	v_lshlrev_b32_e32 v4, 2, v0
	v_fma_f16 v70, v66, s1, v70
	v_fma_f16 v66, v8, s1, v25
	;; [unrolled: 1-line block ×4, first 2 shown]
	v_lshlrev_b64 v[7:8], 2, v[4:5]
	v_fma_f16 v74, v72, s1, v74
	v_add_co_u32_e32 v7, vcc, s8, v7
	v_addc_co_u32_e32 v8, vcc, v16, v8, vcc
	global_load_dwordx4 v[22:25], v[7:8], off offset:1248
	v_add_f16_e32 v7, v21, v31
	v_add_f16_e32 v7, v7, v32
	v_add_f16_e32 v7, v7, v33
	s_waitcnt vmcnt(1)
	v_mul_f16_sdwa v8, v17, v26 dst_sel:DWORD dst_unused:UNUSED_PAD src0_sel:DWORD src1_sel:WORD_1
	v_mul_f16_sdwa v16, v18, v27 dst_sel:DWORD dst_unused:UNUSED_PAD src0_sel:DWORD src1_sel:WORD_1
	v_mul_f16_sdwa v31, v20, v29 dst_sel:DWORD dst_unused:UNUSED_PAD src0_sel:DWORD src1_sel:WORD_1
	v_mul_f16_sdwa v32, v19, v28 dst_sel:DWORD dst_unused:UNUSED_PAD src0_sel:DWORD src1_sel:WORD_1
	v_add_f16_e32 v7, v34, v7
	v_fma_f16 v8, v26, v59, -v8
	v_fma_f16 v16, v27, v49, -v16
	;; [unrolled: 1-line block ×4, first 2 shown]
	v_mul_f16_sdwa v34, v59, v26 dst_sel:DWORD dst_unused:UNUSED_PAD src0_sel:DWORD src1_sel:WORD_1
	v_sub_f16_e32 v21, v8, v16
	v_sub_f16_e32 v33, v31, v32
	v_fma_f16 v17, v17, v26, v34
	v_mul_f16_sdwa v26, v55, v29 dst_sel:DWORD dst_unused:UNUSED_PAD src0_sel:DWORD src1_sel:WORD_1
	v_mul_f16_sdwa v34, v49, v27 dst_sel:DWORD dst_unused:UNUSED_PAD src0_sel:DWORD src1_sel:WORD_1
	v_add_f16_e32 v21, v21, v33
	v_add_f16_e32 v33, v16, v32
	v_fma_f16 v20, v20, v29, v26
	v_fma_f16 v18, v18, v27, v34
	v_mul_f16_sdwa v27, v57, v28 dst_sel:DWORD dst_unused:UNUSED_PAD src0_sel:DWORD src1_sel:WORD_1
	s_waitcnt lgkmcnt(0)
	v_fma_f16 v33, v33, -0.5, v63
	v_sub_f16_e32 v26, v17, v20
	v_fma_f16 v19, v19, v28, v27
	v_fma_f16 v29, v26, s3, v33
	v_sub_f16_e32 v27, v18, v19
	v_sub_f16_e32 v55, v16, v8
	;; [unrolled: 1-line block ×3, first 2 shown]
	v_fma_f16 v4, v54, s2, v62
	v_fma_f16 v28, v27, s2, v29
	v_sub_f16_e32 v29, v17, v18
	v_sub_f16_e32 v34, v20, v19
	v_add_f16_e32 v55, v55, v57
	v_add_f16_e32 v57, v8, v31
	v_sub_f16_e32 v62, v18, v17
	v_sub_f16_e32 v72, v19, v20
	v_add_f16_e32 v29, v29, v34
	v_add_f16_e32 v34, v18, v19
	v_fma_f16 v57, v57, -0.5, v63
	v_add_f16_e32 v62, v62, v72
	v_add_f16_e32 v72, v17, v20
	v_fma_f16 v34, v34, -0.5, v14
	v_sub_f16_e32 v49, v8, v31
	v_fma_f16 v59, v27, s0, v57
	v_fma_f16 v72, v72, -0.5, v14
	v_fma_f16 v57, v27, s3, v57
	v_add_f16_e32 v8, v8, v63
	v_add_f16_e32 v14, v14, v17
	v_fma_f16 v4, v52, s1, v4
	v_fma_f16 v52, v49, s0, v34
	v_sub_f16_e32 v54, v16, v32
	v_fma_f16 v59, v26, s2, v59
	v_fma_f16 v57, v26, s4, v57
	;; [unrolled: 1-line block ×3, first 2 shown]
	v_add_f16_e32 v8, v16, v8
	v_fma_f16 v16, v49, s3, v34
	v_add_f16_e32 v14, v14, v18
	ds_read_u16 v1, v1
	v_fma_f16 v52, v54, s4, v52
	v_fma_f16 v26, v27, s4, v26
	;; [unrolled: 1-line block ×3, first 2 shown]
	v_add_f16_e32 v14, v14, v19
	v_fma_f16 v28, v21, s1, v28
	v_fma_f16 v52, v29, s1, v52
	;; [unrolled: 1-line block ×4, first 2 shown]
	v_add_f16_e32 v14, v20, v14
	v_add_f16_e32 v8, v32, v8
	;; [unrolled: 1-line block ×3, first 2 shown]
	v_fma_f16 v59, v55, s1, v59
	v_fma_f16 v73, v54, s3, v72
	;; [unrolled: 1-line block ×4, first 2 shown]
	v_add_co_u32_e32 v2, vcc, s12, v2
	v_fma_f16 v73, v49, s4, v73
	v_fma_f16 v57, v49, s2, v57
	s_waitcnt vmcnt(0)
	v_mul_f16_sdwa v17, v13, v22 dst_sel:DWORD dst_unused:UNUSED_PAD src0_sel:DWORD src1_sel:WORD_1
	v_mul_f16_sdwa v18, v12, v23 dst_sel:DWORD dst_unused:UNUSED_PAD src0_sel:DWORD src1_sel:WORD_1
	;; [unrolled: 1-line block ×5, first 2 shown]
	v_fma_f16 v17, v22, v60, -v17
	v_fma_f16 v18, v23, v50, -v18
	;; [unrolled: 1-line block ×4, first 2 shown]
	v_fma_f16 v13, v13, v22, v29
	v_mul_f16_sdwa v29, v50, v23 dst_sel:DWORD dst_unused:UNUSED_PAD src0_sel:DWORD src1_sel:WORD_1
	v_sub_f16_e32 v19, v17, v18
	v_sub_f16_e32 v27, v20, v26
	v_fma_f16 v12, v12, v23, v29
	v_mul_f16_sdwa v23, v45, v24 dst_sel:DWORD dst_unused:UNUSED_PAD src0_sel:DWORD src1_sel:WORD_1
	v_sub_f16_e32 v34, v18, v17
	v_sub_f16_e32 v45, v26, v20
	v_add_f16_e32 v19, v19, v27
	v_add_f16_e32 v27, v18, v26
	;; [unrolled: 1-line block ×4, first 2 shown]
	s_waitcnt lgkmcnt(0)
	v_fma_f16 v27, v27, -0.5, v1
	v_mul_f16_sdwa v22, v56, v25 dst_sel:DWORD dst_unused:UNUSED_PAD src0_sel:DWORD src1_sel:WORD_1
	v_fma_f16 v45, v45, -0.5, v1
	v_add_f16_e32 v1, v17, v1
	v_fma_f16 v15, v15, v25, v22
	v_add_f16_e32 v1, v18, v1
	v_sub_f16_e32 v22, v13, v15
	v_fma_f16 v11, v11, v24, v23
	v_add_f16_e32 v1, v26, v1
	v_fma_f16 v25, v22, s3, v27
	v_sub_f16_e32 v23, v12, v11
	v_sub_f16_e32 v31, v17, v20
	v_add_f16_e32 v17, v20, v1
	v_add_f16_e32 v1, v10, v13
	v_fma_f16 v24, v23, s2, v25
	v_sub_f16_e32 v25, v13, v12
	v_sub_f16_e32 v29, v15, v11
	;; [unrolled: 1-line block ×4, first 2 shown]
	v_add_f16_e32 v1, v1, v12
	v_add_f16_e32 v25, v25, v29
	;; [unrolled: 1-line block ×6, first 2 shown]
	v_fma_f16 v29, v29, -0.5, v10
	v_fma_f16 v54, v54, -0.5, v10
	v_add_f16_e32 v10, v15, v1
	v_fma_f16 v1, v23, s0, v45
	v_sub_f16_e32 v33, v18, v26
	v_fma_f16 v1, v22, s2, v1
	v_fma_f16 v11, v34, s1, v1
	;; [unrolled: 1-line block ×6, first 2 shown]
	v_mov_b32_e32 v1, v5
	v_fma_f16 v27, v23, s4, v27
	v_mov_b32_e32 v13, s13
	v_lshlrev_b64 v[0:1], 2, v[0:1]
	v_fma_f16 v24, v19, s1, v24
	v_fma_f16 v32, v31, s0, v29
	;; [unrolled: 1-line block ×4, first 2 shown]
	v_addc_co_u32_e32 v3, vcc, v13, v3, vcc
	v_fma_f16 v32, v33, s4, v32
	v_fma_f16 v49, v23, s3, v45
	;; [unrolled: 1-line block ×4, first 2 shown]
	v_add_co_u32_e32 v0, vcc, v2, v0
	v_fma_f16 v32, v25, s1, v32
	v_fma_f16 v49, v22, s4, v49
	;; [unrolled: 1-line block ×4, first 2 shown]
	v_addc_co_u32_e32 v1, vcc, v3, v1, vcc
	v_pack_b32_f16 v2, v10, v17
	v_fma_f16 v49, v34, s1, v49
	v_fma_f16 v56, v50, s1, v56
	global_store_dword v[0:1], v2, off
	v_pack_b32_f16 v2, v25, v19
	global_store_dword v[0:1], v2, off offset:1260
	v_pack_b32_f16 v2, v56, v49
	global_store_dword v[0:1], v2, off offset:2520
	v_pack_b32_f16 v2, v12, v11
	s_movk_i32 s0, 0x1000
	global_store_dword v[0:1], v2, off offset:3780
	v_add_co_u32_e32 v2, vcc, s0, v0
	v_pack_b32_f16 v4, v4, v67
	v_addc_co_u32_e32 v3, vcc, 0, v1, vcc
	global_store_dword v[0:1], v4, off offset:3024
	v_pack_b32_f16 v4, v53, v66
	v_pack_b32_f16 v7, v7, v47
	global_store_dword v[2:3], v4, off offset:188
	v_pack_b32_f16 v4, v58, v48
	v_pack_b32_f16 v8, v14, v8
	global_store_dword v[0:1], v7, off offset:504
	v_pack_b32_f16 v7, v64, v61
	global_store_dword v[2:3], v4, off offset:1448
	v_pack_b32_f16 v4, v30, v9
	s_mov_b32 s0, 0xa01a01a1
	v_fma_f16 v57, v62, s1, v57
	global_store_dword v[0:1], v8, off offset:252
	v_pack_b32_f16 v8, v16, v21
	global_store_dword v[0:1], v7, off offset:1764
	global_store_dword v[0:1], v4, off offset:756
	v_pack_b32_f16 v4, v74, v70
	v_mul_hi_u32 v7, v6, s0
	v_fma_f16 v73, v62, s1, v73
	global_store_dword v[0:1], v8, off offset:1512
	v_pack_b32_f16 v8, v57, v55
	global_store_dword v[0:1], v4, off offset:2016
	v_pack_b32_f16 v4, v41, v42
	;; [unrolled: 2-line block ×4, first 2 shown]
	v_pack_b32_f16 v10, v32, v24
	global_store_dword v[0:1], v8, off offset:4032
	v_pack_b32_f16 v8, v52, v28
	global_store_dword v[2:3], v4, off offset:440
	;; [unrolled: 2-line block ×3, first 2 shown]
	global_store_dword v[2:3], v8, off offset:1196
	global_store_dword v[2:3], v4, off offset:1700
	v_sub_u32_e32 v2, v6, v7
	v_lshrrev_b32_e32 v2, 1, v2
	v_add_u32_e32 v2, v2, v7
	v_lshrrev_b32_e32 v2, 8, v2
	v_mul_u32_u24_e32 v4, 0x4ec, v2
	v_lshlrev_b64 v[2:3], 2, v[4:5]
	v_pack_b32_f16 v4, v35, v44
	v_add_co_u32_e32 v0, vcc, v0, v2
	v_addc_co_u32_e32 v1, vcc, v1, v3, vcc
	v_add_co_u32_e32 v2, vcc, 0x3f0, v0
	global_store_dword v[0:1], v4, off offset:1008
	v_pack_b32_f16 v4, v71, v39
	v_addc_co_u32_e32 v3, vcc, 0, v1, vcc
	global_store_dword v[0:1], v4, off offset:2268
	v_pack_b32_f16 v4, v37, v36
	global_store_dword v[0:1], v4, off offset:3528
	v_pack_b32_f16 v4, v69, v68
	v_add_co_u32_e32 v0, vcc, 0x1000, v0
	global_store_dword v[2:3], v4, off offset:3780
	v_pack_b32_f16 v2, v46, v38
	v_addc_co_u32_e32 v1, vcc, 0, v1, vcc
	global_store_dword v[0:1], v2, off offset:1952
.LBB0_35:
	s_endpgm
	.section	.rodata,"a",@progbits
	.p2align	6, 0x0
	.amdhsa_kernel fft_rtc_back_len1575_factors_3_3_5_7_5_wgs_63_tpt_63_halfLds_half_ip_CI_unitstride_sbrr_dirReg
		.amdhsa_group_segment_fixed_size 0
		.amdhsa_private_segment_fixed_size 0
		.amdhsa_kernarg_size 88
		.amdhsa_user_sgpr_count 6
		.amdhsa_user_sgpr_private_segment_buffer 1
		.amdhsa_user_sgpr_dispatch_ptr 0
		.amdhsa_user_sgpr_queue_ptr 0
		.amdhsa_user_sgpr_kernarg_segment_ptr 1
		.amdhsa_user_sgpr_dispatch_id 0
		.amdhsa_user_sgpr_flat_scratch_init 0
		.amdhsa_user_sgpr_private_segment_size 0
		.amdhsa_uses_dynamic_stack 0
		.amdhsa_system_sgpr_private_segment_wavefront_offset 0
		.amdhsa_system_sgpr_workgroup_id_x 1
		.amdhsa_system_sgpr_workgroup_id_y 0
		.amdhsa_system_sgpr_workgroup_id_z 0
		.amdhsa_system_sgpr_workgroup_info 0
		.amdhsa_system_vgpr_workitem_id 0
		.amdhsa_next_free_vgpr 112
		.amdhsa_next_free_sgpr 22
		.amdhsa_reserve_vcc 1
		.amdhsa_reserve_flat_scratch 0
		.amdhsa_float_round_mode_32 0
		.amdhsa_float_round_mode_16_64 0
		.amdhsa_float_denorm_mode_32 3
		.amdhsa_float_denorm_mode_16_64 3
		.amdhsa_dx10_clamp 1
		.amdhsa_ieee_mode 1
		.amdhsa_fp16_overflow 0
		.amdhsa_exception_fp_ieee_invalid_op 0
		.amdhsa_exception_fp_denorm_src 0
		.amdhsa_exception_fp_ieee_div_zero 0
		.amdhsa_exception_fp_ieee_overflow 0
		.amdhsa_exception_fp_ieee_underflow 0
		.amdhsa_exception_fp_ieee_inexact 0
		.amdhsa_exception_int_div_zero 0
	.end_amdhsa_kernel
	.text
.Lfunc_end0:
	.size	fft_rtc_back_len1575_factors_3_3_5_7_5_wgs_63_tpt_63_halfLds_half_ip_CI_unitstride_sbrr_dirReg, .Lfunc_end0-fft_rtc_back_len1575_factors_3_3_5_7_5_wgs_63_tpt_63_halfLds_half_ip_CI_unitstride_sbrr_dirReg
                                        ; -- End function
	.section	.AMDGPU.csdata,"",@progbits
; Kernel info:
; codeLenInByte = 16664
; NumSgprs: 26
; NumVgprs: 112
; ScratchSize: 0
; MemoryBound: 0
; FloatMode: 240
; IeeeMode: 1
; LDSByteSize: 0 bytes/workgroup (compile time only)
; SGPRBlocks: 3
; VGPRBlocks: 27
; NumSGPRsForWavesPerEU: 26
; NumVGPRsForWavesPerEU: 112
; Occupancy: 2
; WaveLimiterHint : 1
; COMPUTE_PGM_RSRC2:SCRATCH_EN: 0
; COMPUTE_PGM_RSRC2:USER_SGPR: 6
; COMPUTE_PGM_RSRC2:TRAP_HANDLER: 0
; COMPUTE_PGM_RSRC2:TGID_X_EN: 1
; COMPUTE_PGM_RSRC2:TGID_Y_EN: 0
; COMPUTE_PGM_RSRC2:TGID_Z_EN: 0
; COMPUTE_PGM_RSRC2:TIDIG_COMP_CNT: 0
	.type	__hip_cuid_c28452e5d7da7e80,@object ; @__hip_cuid_c28452e5d7da7e80
	.section	.bss,"aw",@nobits
	.globl	__hip_cuid_c28452e5d7da7e80
__hip_cuid_c28452e5d7da7e80:
	.byte	0                               ; 0x0
	.size	__hip_cuid_c28452e5d7da7e80, 1

	.ident	"AMD clang version 19.0.0git (https://github.com/RadeonOpenCompute/llvm-project roc-6.4.0 25133 c7fe45cf4b819c5991fe208aaa96edf142730f1d)"
	.section	".note.GNU-stack","",@progbits
	.addrsig
	.addrsig_sym __hip_cuid_c28452e5d7da7e80
	.amdgpu_metadata
---
amdhsa.kernels:
  - .args:
      - .actual_access:  read_only
        .address_space:  global
        .offset:         0
        .size:           8
        .value_kind:     global_buffer
      - .offset:         8
        .size:           8
        .value_kind:     by_value
      - .actual_access:  read_only
        .address_space:  global
        .offset:         16
        .size:           8
        .value_kind:     global_buffer
      - .actual_access:  read_only
        .address_space:  global
        .offset:         24
        .size:           8
        .value_kind:     global_buffer
      - .offset:         32
        .size:           8
        .value_kind:     by_value
      - .actual_access:  read_only
        .address_space:  global
        .offset:         40
        .size:           8
        .value_kind:     global_buffer
      - .actual_access:  read_only
        .address_space:  global
        .offset:         48
        .size:           8
        .value_kind:     global_buffer
      - .offset:         56
        .size:           4
        .value_kind:     by_value
      - .actual_access:  read_only
        .address_space:  global
        .offset:         64
        .size:           8
        .value_kind:     global_buffer
      - .actual_access:  read_only
        .address_space:  global
        .offset:         72
        .size:           8
        .value_kind:     global_buffer
      - .address_space:  global
        .offset:         80
        .size:           8
        .value_kind:     global_buffer
    .group_segment_fixed_size: 0
    .kernarg_segment_align: 8
    .kernarg_segment_size: 88
    .language:       OpenCL C
    .language_version:
      - 2
      - 0
    .max_flat_workgroup_size: 63
    .name:           fft_rtc_back_len1575_factors_3_3_5_7_5_wgs_63_tpt_63_halfLds_half_ip_CI_unitstride_sbrr_dirReg
    .private_segment_fixed_size: 0
    .sgpr_count:     26
    .sgpr_spill_count: 0
    .symbol:         fft_rtc_back_len1575_factors_3_3_5_7_5_wgs_63_tpt_63_halfLds_half_ip_CI_unitstride_sbrr_dirReg.kd
    .uniform_work_group_size: 1
    .uses_dynamic_stack: false
    .vgpr_count:     112
    .vgpr_spill_count: 0
    .wavefront_size: 64
amdhsa.target:   amdgcn-amd-amdhsa--gfx906
amdhsa.version:
  - 1
  - 2
...

	.end_amdgpu_metadata
